;; amdgpu-corpus repo=ROCm/rocFFT kind=compiled arch=gfx906 opt=O3
	.text
	.amdgcn_target "amdgcn-amd-amdhsa--gfx906"
	.amdhsa_code_object_version 6
	.protected	bluestein_single_fwd_len968_dim1_sp_op_CI_CI ; -- Begin function bluestein_single_fwd_len968_dim1_sp_op_CI_CI
	.globl	bluestein_single_fwd_len968_dim1_sp_op_CI_CI
	.p2align	8
	.type	bluestein_single_fwd_len968_dim1_sp_op_CI_CI,@function
bluestein_single_fwd_len968_dim1_sp_op_CI_CI: ; @bluestein_single_fwd_len968_dim1_sp_op_CI_CI
; %bb.0:
	s_load_dwordx4 s[8:11], s[4:5], 0x28
	v_mul_u32_u24_e32 v1, 0x2e9, v0
	v_lshrrev_b32_e32 v2, 16, v1
	v_lshl_add_u32 v78, s6, 1, v2
	v_mov_b32_e32 v79, 0
	s_waitcnt lgkmcnt(0)
	v_cmp_gt_u64_e32 vcc, s[8:9], v[78:79]
	s_and_saveexec_b64 s[0:1], vcc
	s_cbranch_execz .LBB0_31
; %bb.1:
	s_load_dwordx4 s[12:15], s[4:5], 0x18
	v_mul_lo_u16_e32 v1, 0x58, v2
	v_sub_u16_e32 v92, v0, v1
	v_lshlrev_b32_e32 v25, 3, v92
	s_waitcnt lgkmcnt(0)
	s_load_dwordx4 s[0:3], s[12:13], 0x0
	s_nop 0
	s_load_dwordx2 s[12:13], s[4:5], 0x0
	s_waitcnt lgkmcnt(0)
	v_mad_u64_u32 v[0:1], s[6:7], s2, v78, 0
	v_mad_u64_u32 v[3:4], s[6:7], s0, v92, 0
	;; [unrolled: 1-line block ×3, first 2 shown]
	s_mul_i32 s6, s1, 0x1e4
	s_mul_hi_u32 s7, s0, 0x1e4
	v_mad_u64_u32 v[6:7], s[2:3], s1, v92, v[4:5]
	v_mov_b32_e32 v1, v5
	v_lshlrev_b64 v[0:1], 3, v[0:1]
	v_mov_b32_e32 v7, s11
	v_mov_b32_e32 v4, v6
	v_add_co_u32_e32 v5, vcc, s10, v0
	v_addc_co_u32_e32 v6, vcc, v7, v1, vcc
	v_lshlrev_b64 v[0:1], 3, v[3:4]
	s_add_i32 s7, s7, s6
	s_mul_i32 s6, s0, 0x1e4
	v_add_co_u32_e32 v0, vcc, v5, v0
	v_mov_b32_e32 v5, s13
	v_add_co_u32_e64 v64, s[2:3], s12, v25
	s_lshl_b64 s[16:17], s[6:7], 3
	s_mul_hi_u32 s6, s0, 0xfffffe74
	v_addc_co_u32_e32 v1, vcc, v6, v1, vcc
	v_addc_co_u32_e64 v65, vcc, 0, v5, s[2:3]
	s_mulk_i32 s1, 0xfe74
	s_sub_i32 s6, s6, s0
	global_load_dwordx2 v[3:4], v[0:1], off
	v_mov_b32_e32 v23, s17
	v_add_co_u32_e32 v0, vcc, s16, v0
	s_add_i32 s1, s6, s1
	s_mulk_i32 s0, 0xfe74
	v_addc_co_u32_e32 v1, vcc, v1, v23, vcc
	s_lshl_b64 s[18:19], s[0:1], 3
	v_mov_b32_e32 v21, s19
	v_add_co_u32_e32 v5, vcc, s18, v0
	v_addc_co_u32_e32 v6, vcc, v1, v21, vcc
	v_add_co_u32_e32 v7, vcc, s16, v5
	v_addc_co_u32_e32 v8, vcc, v6, v23, vcc
	s_movk_i32 s0, 0x1000
	global_load_dwordx2 v[83:84], v25, s[12:13] offset:3872
	global_load_dwordx2 v[85:86], v25, s[12:13]
	global_load_dwordx2 v[81:82], v25, s[12:13] offset:704
	global_load_dwordx2 v[9:10], v[0:1], off
	global_load_dwordx2 v[11:12], v[5:6], off
	;; [unrolled: 1-line block ×3, first 2 shown]
	v_add_co_u32_e32 v5, vcc, s0, v64
	v_addc_co_u32_e32 v6, vcc, 0, v65, vcc
	v_add_co_u32_e32 v0, vcc, s18, v7
	v_addc_co_u32_e32 v1, vcc, v8, v21, vcc
	global_load_dwordx2 v[79:80], v[5:6], off offset:480
	global_load_dwordx2 v[7:8], v[0:1], off
	global_load_dwordx2 v[76:77], v25, s[12:13] offset:1408
	v_add_co_u32_e32 v0, vcc, s16, v0
	v_addc_co_u32_e32 v1, vcc, v1, v23, vcc
	global_load_dwordx2 v[15:16], v[0:1], off
	global_load_dwordx2 v[74:75], v[5:6], off offset:1184
	v_add_co_u32_e32 v0, vcc, s18, v0
	v_addc_co_u32_e32 v1, vcc, v1, v21, vcc
	global_load_dwordx2 v[17:18], v[0:1], off
	global_load_dwordx2 v[72:73], v25, s[12:13] offset:2112
	v_add_co_u32_e32 v0, vcc, s16, v0
	v_addc_co_u32_e32 v1, vcc, v1, v23, vcc
	global_load_dwordx2 v[19:20], v[0:1], off
	global_load_dwordx2 v[70:71], v[5:6], off offset:1888
	v_add_co_u32_e32 v0, vcc, s18, v0
	v_addc_co_u32_e32 v1, vcc, v1, v21, vcc
	global_load_dwordx2 v[21:22], v[0:1], off
	global_load_dwordx2 v[68:69], v25, s[12:13] offset:2816
	v_add_co_u32_e32 v0, vcc, s16, v0
	v_addc_co_u32_e32 v1, vcc, v1, v23, vcc
	global_load_dwordx2 v[23:24], v[0:1], off
	global_load_dwordx2 v[66:67], v[5:6], off offset:2592
	v_and_b32_e32 v2, 1, v2
	v_cmp_eq_u32_e32 vcc, 1, v2
	v_mov_b32_e32 v5, 0x1e40
	v_cndmask_b32_e32 v93, 0, v5, vcc
	v_add_u32_e32 v91, v93, v25
	s_load_dwordx2 s[6:7], s[4:5], 0x38
	s_load_dwordx4 s[8:11], s[14:15], 0x0
	v_cmp_gt_u16_e64 s[0:1], 44, v92
	s_waitcnt vmcnt(17)
	v_mul_f32_e32 v2, v4, v86
	v_fmac_f32_e32 v2, v3, v85
	v_mul_f32_e32 v3, v3, v86
	v_fma_f32 v3, v4, v85, -v3
	s_waitcnt vmcnt(15)
	v_mul_f32_e32 v4, v10, v84
	v_mul_f32_e32 v5, v9, v84
	v_fmac_f32_e32 v4, v9, v83
	v_fma_f32 v5, v10, v83, -v5
	ds_write_b64 v91, v[4:5] offset:3872
	s_waitcnt vmcnt(14)
	v_mul_f32_e32 v4, v12, v82
	v_mul_f32_e32 v5, v11, v82
	v_fmac_f32_e32 v4, v11, v81
	v_fma_f32 v5, v12, v81, -v5
	ds_write2_b64 v91, v[2:3], v[4:5] offset1:88
	s_waitcnt vmcnt(10)
	v_mul_f32_e32 v4, v8, v77
	v_mul_f32_e32 v2, v14, v80
	;; [unrolled: 1-line block ×3, first 2 shown]
	v_fmac_f32_e32 v4, v7, v76
	v_mul_f32_e32 v5, v7, v77
	s_waitcnt vmcnt(8)
	v_mul_f32_e32 v6, v16, v75
	v_mul_f32_e32 v7, v15, v75
	v_fmac_f32_e32 v2, v13, v79
	v_fma_f32 v3, v14, v79, -v3
	v_fma_f32 v5, v8, v76, -v5
	v_fmac_f32_e32 v6, v15, v74
	v_fma_f32 v7, v16, v74, -v7
	v_add_u32_e32 v8, 0x1000, v91
	ds_write2_b64 v8, v[2:3], v[6:7] offset0:60 offset1:148
	s_waitcnt vmcnt(6)
	v_mul_f32_e32 v2, v18, v73
	v_mul_f32_e32 v3, v17, v73
	v_fmac_f32_e32 v2, v17, v72
	v_fma_f32 v3, v18, v72, -v3
	v_add_u32_e32 v9, 0x400, v91
	ds_write2_b64 v9, v[4:5], v[2:3] offset0:48 offset1:136
	s_waitcnt vmcnt(2)
	v_mul_f32_e32 v4, v22, v69
	v_mul_f32_e32 v5, v21, v69
	v_fmac_f32_e32 v4, v21, v68
	v_fma_f32 v5, v22, v68, -v5
	v_mul_f32_e32 v2, v20, v71
	v_mul_f32_e32 v3, v19, v71
	ds_write_b64 v91, v[4:5] offset:2816
	s_waitcnt vmcnt(0)
	v_mul_f32_e32 v4, v24, v67
	v_mul_f32_e32 v5, v23, v67
	v_fmac_f32_e32 v2, v19, v70
	v_fma_f32 v3, v20, v70, -v3
	v_fmac_f32_e32 v4, v23, v66
	v_fma_f32 v5, v24, v66, -v5
	v_add_u32_e32 v12, 0x1400, v91
	ds_write2_b64 v12, v[2:3], v[4:5] offset0:108 offset1:196
	s_and_saveexec_b64 s[14:15], s[0:1]
	s_cbranch_execz .LBB0_3
; %bb.2:
	v_mov_b32_e32 v2, s19
	v_add_co_u32_e32 v0, vcc, s18, v0
	v_addc_co_u32_e32 v1, vcc, v1, v2, vcc
	global_load_dwordx2 v[2:3], v[0:1], off
	global_load_dwordx2 v[4:5], v[64:65], off offset:3520
	v_mov_b32_e32 v6, s17
	v_add_co_u32_e32 v0, vcc, s16, v0
	v_addc_co_u32_e32 v1, vcc, v1, v6, vcc
	v_add_co_u32_e32 v6, vcc, 0x1000, v64
	v_addc_co_u32_e32 v7, vcc, 0, v65, vcc
	global_load_dwordx2 v[10:11], v[6:7], off offset:3296
	global_load_dwordx2 v[13:14], v[0:1], off
	s_waitcnt vmcnt(2)
	v_mul_f32_e32 v0, v3, v5
	v_mul_f32_e32 v1, v2, v5
	v_fmac_f32_e32 v0, v2, v4
	v_fma_f32 v1, v3, v4, -v1
	ds_write_b64 v91, v[0:1] offset:3520
	s_waitcnt vmcnt(0)
	v_mul_f32_e32 v2, v14, v11
	v_mul_f32_e32 v3, v13, v11
	v_fmac_f32_e32 v2, v13, v10
	v_fma_f32 v3, v14, v10, -v3
	ds_write_b64 v91, v[2:3] offset:7392
.LBB0_3:
	s_or_b64 exec, exec, s[14:15]
	v_add_u32_e32 v0, 0x800, v91
	s_waitcnt lgkmcnt(0)
	s_barrier
	ds_read2_b64 v[4:7], v91 offset1:88
	ds_read2_b64 v[0:3], v0 offset0:96 offset1:228
	ds_read2_b64 v[16:19], v8 offset0:60 offset1:148
	;; [unrolled: 1-line block ×4, first 2 shown]
                                        ; implicit-def: $vgpr22
                                        ; implicit-def: $vgpr20
	s_and_saveexec_b64 s[14:15], s[0:1]
	s_cbranch_execz .LBB0_5
; %bb.4:
	ds_read_b64 v[20:21], v91 offset:3520
	ds_read_b64 v[22:23], v91 offset:7392
.LBB0_5:
	s_or_b64 exec, exec, s[14:15]
	s_load_dwordx2 s[4:5], s[4:5], 0x8
	s_waitcnt lgkmcnt(0)
	v_sub_f32_e32 v27, v4, v2
	v_sub_f32_e32 v28, v5, v3
	v_lshlrev_b32_e32 v24, 1, v92
	v_fma_f32 v25, v4, 2.0, -v27
	v_fma_f32 v26, v5, 2.0, -v28
	v_sub_f32_e32 v32, v6, v16
	v_sub_f32_e32 v33, v7, v17
	v_lshl_add_u32 v96, v92, 4, v93
	v_add_co_u32_e32 v29, vcc, 0x1b8, v92
	v_fma_f32 v30, v6, 2.0, -v32
	v_fma_f32 v31, v7, 2.0, -v33
	v_sub_f32_e32 v6, v8, v18
	v_sub_f32_e32 v7, v9, v19
	;; [unrolled: 1-line block ×8, first 2 shown]
	s_barrier
	ds_write_b128 v96, v[25:28]
	v_add_u32_e32 v28, 0xb0, v24
	v_add_u32_e32 v27, 0x160, v24
	;; [unrolled: 1-line block ×4, first 2 shown]
	v_fma_f32 v4, v8, 2.0, -v6
	v_fma_f32 v5, v9, 2.0, -v7
	v_fma_f32 v10, v10, 2.0, -v12
	v_fma_f32 v11, v11, 2.0, -v13
	v_fma_f32 v14, v0, 2.0, -v16
	v_fma_f32 v15, v1, 2.0, -v17
	v_fma_f32 v0, v20, 2.0, -v2
	v_fma_f32 v1, v21, 2.0, -v3
	v_lshl_add_u32 v97, v28, 3, v93
	v_lshl_add_u32 v100, v27, 3, v93
	;; [unrolled: 1-line block ×5, first 2 shown]
	ds_write_b128 v97, v[30:33]
	ds_write_b128 v100, v[4:7]
	;; [unrolled: 1-line block ×4, first 2 shown]
	s_and_saveexec_b64 s[14:15], s[0:1]
	s_cbranch_execz .LBB0_7
; %bb.6:
	ds_write_b128 v99, v[0:3]
.LBB0_7:
	s_or_b64 exec, exec, s[14:15]
	v_add_u32_e32 v12, 0x1000, v91
	s_waitcnt lgkmcnt(0)
	s_barrier
	v_add_u32_e32 v4, 0x800, v91
	ds_read2_b64 v[16:19], v12 offset0:60 offset1:148
	v_add_u32_e32 v12, 0x400, v91
	v_add_u32_e32 v20, 0x1400, v91
	ds_read2_b64 v[8:11], v91 offset1:88
	ds_read2_b64 v[4:7], v4 offset0:96 offset1:228
	ds_read2_b64 v[12:15], v12 offset0:48 offset1:136
	;; [unrolled: 1-line block ×3, first 2 shown]
	s_and_saveexec_b64 s[14:15], s[0:1]
	s_cbranch_execz .LBB0_9
; %bb.8:
	ds_read_b64 v[0:1], v91 offset:3520
	ds_read_b64 v[2:3], v91 offset:7392
.LBB0_9:
	s_or_b64 exec, exec, s[14:15]
	v_and_b32_e32 v94, 1, v92
	v_lshlrev_b32_e32 v30, 3, v94
	global_load_dwordx2 v[87:88], v30, s[4:5]
	s_movk_i32 s14, 0xfc
	s_movk_i32 s15, 0x1fc
	;; [unrolled: 1-line block ×3, first 2 shown]
	v_and_or_b32 v30, v24, s14, v94
	v_and_or_b32 v31, v28, s15, v94
	;; [unrolled: 1-line block ×5, first 2 shown]
	v_lshl_add_u32 v107, v30, 3, v93
	v_lshl_add_u32 v106, v31, 3, v93
	;; [unrolled: 1-line block ×5, first 2 shown]
	v_lshlrev_b32_e32 v95, 1, v29
	s_waitcnt vmcnt(0) lgkmcnt(0)
	s_barrier
	v_mul_f32_e32 v30, v7, v88
	v_mul_f32_e32 v31, v6, v88
	;; [unrolled: 1-line block ×12, first 2 shown]
	v_fma_f32 v6, v6, v87, -v30
	v_fmac_f32_e32 v31, v7, v87
	v_fmac_f32_e32 v37, v21, v87
	v_fma_f32 v21, v2, v87, -v40
	v_fmac_f32_e32 v41, v3, v87
	v_fma_f32 v7, v16, v87, -v32
	;; [unrolled: 2-line block ×4, first 2 shown]
	v_fma_f32 v20, v22, v87, -v38
	v_fmac_f32_e32 v39, v23, v87
	v_sub_f32_e32 v2, v8, v6
	v_sub_f32_e32 v3, v9, v31
	;; [unrolled: 1-line block ×12, first 2 shown]
	v_fma_f32 v8, v8, 2.0, -v2
	v_fma_f32 v9, v9, 2.0, -v3
	;; [unrolled: 1-line block ×12, first 2 shown]
	ds_write2_b64 v107, v[8:9], v[2:3] offset1:2
	ds_write2_b64 v106, v[10:11], v[6:7] offset1:2
	;; [unrolled: 1-line block ×5, first 2 shown]
	s_and_saveexec_b64 s[14:15], s[0:1]
	s_cbranch_execz .LBB0_11
; %bb.10:
	v_and_or_b32 v0, v95, s12, v94
	v_lshl_add_u32 v0, v0, 3, v93
	ds_write2_b64 v0, v[20:21], v[22:23] offset1:2
.LBB0_11:
	s_or_b64 exec, exec, s[14:15]
	v_add_u32_e32 v8, 0x1000, v91
	s_waitcnt lgkmcnt(0)
	s_barrier
	v_add_u32_e32 v0, 0x800, v91
	ds_read2_b64 v[12:15], v8 offset0:60 offset1:148
	v_add_u32_e32 v8, 0x400, v91
	v_add_u32_e32 v16, 0x1400, v91
	ds_read2_b64 v[4:7], v91 offset1:88
	ds_read2_b64 v[0:3], v0 offset0:96 offset1:228
	ds_read2_b64 v[8:11], v8 offset0:48 offset1:136
	;; [unrolled: 1-line block ×3, first 2 shown]
	s_and_saveexec_b64 s[14:15], s[0:1]
	s_cbranch_execz .LBB0_13
; %bb.12:
	ds_read_b64 v[20:21], v91 offset:3520
	ds_read_b64 v[22:23], v91 offset:7392
.LBB0_13:
	s_or_b64 exec, exec, s[14:15]
	v_and_b32_e32 v98, 3, v92
	v_lshlrev_b32_e32 v29, 3, v98
	global_load_dwordx2 v[89:90], v29, s[4:5] offset:16
	s_movk_i32 s12, 0xf8
	s_waitcnt vmcnt(0) lgkmcnt(0)
	s_barrier
	v_mul_f32_e32 v29, v3, v90
	v_fma_f32 v29, v2, v89, -v29
	v_mul_f32_e32 v30, v2, v90
	v_mul_f32_e32 v2, v13, v90
	v_fma_f32 v31, v12, v89, -v2
	v_mul_f32_e32 v2, v15, v90
	v_fma_f32 v33, v14, v89, -v2
	;; [unrolled: 2-line block ×5, first 2 shown]
	v_mul_f32_e32 v22, v22, v90
	v_fmac_f32_e32 v30, v3, v89
	v_fmac_f32_e32 v22, v23, v89
	v_sub_f32_e32 v2, v4, v29
	v_sub_f32_e32 v3, v5, v30
	v_sub_f32_e32 v61, v21, v22
	v_and_or_b32 v22, v24, s12, v98
	v_fma_f32 v4, v4, 2.0, -v2
	v_fma_f32 v5, v5, 2.0, -v3
	v_lshl_add_u32 v108, v22, 3, v93
	s_movk_i32 s12, 0x1f8
	ds_write2_b64 v108, v[4:5], v[2:3] offset1:4
	v_and_or_b32 v2, v28, s12, v98
	s_movk_i32 s12, 0x3f8
	v_mul_f32_e32 v32, v12, v90
	v_mul_f32_e32 v34, v14, v90
	;; [unrolled: 1-line block ×4, first 2 shown]
	v_lshl_add_u32 v109, v2, 3, v93
	v_and_or_b32 v2, v27, s12, v98
	v_fmac_f32_e32 v32, v13, v89
	v_fmac_f32_e32 v34, v15, v89
	;; [unrolled: 1-line block ×4, first 2 shown]
	v_lshl_add_u32 v110, v2, 3, v93
	v_and_or_b32 v2, v26, s12, v98
	v_sub_f32_e32 v12, v6, v31
	v_sub_f32_e32 v13, v7, v32
	;; [unrolled: 1-line block ×8, first 2 shown]
	v_lshl_add_u32 v111, v2, 3, v93
	v_and_or_b32 v2, v25, s12, v98
	v_fma_f32 v6, v6, 2.0, -v12
	v_fma_f32 v7, v7, 2.0, -v13
	;; [unrolled: 1-line block ×8, first 2 shown]
	v_sub_f32_e32 v60, v20, v39
	v_lshl_add_u32 v112, v2, 3, v93
	ds_write2_b64 v109, v[6:7], v[12:13] offset1:4
	ds_write2_b64 v110, v[8:9], v[14:15] offset1:4
	;; [unrolled: 1-line block ×4, first 2 shown]
	s_and_saveexec_b64 s[14:15], s[0:1]
	s_cbranch_execz .LBB0_15
; %bb.14:
	v_and_or_b32 v2, v95, s12, v98
	v_fma_f32 v1, v21, 2.0, -v61
	v_fma_f32 v0, v20, 2.0, -v60
	v_lshl_add_u32 v2, v2, 3, v93
	ds_write2_b64 v2, v[0:1], v[60:61] offset1:4
.LBB0_15:
	s_or_b64 exec, exec, s[14:15]
	v_mov_b32_e32 v21, s5
	v_and_b32_e32 v45, 7, v92
	s_movk_i32 s16, 0x50
	v_mov_b32_e32 v20, s4
	v_mad_u64_u32 v[22:23], s[4:5], v45, s16, v[20:21]
	s_waitcnt lgkmcnt(0)
	s_barrier
	global_load_dwordx4 v[12:15], v[22:23], off offset:48
	global_load_dwordx4 v[8:11], v[22:23], off offset:64
	;; [unrolled: 1-line block ×5, first 2 shown]
	ds_read2_b64 v[22:25], v91 offset1:88
	v_add_u32_e32 v48, 0x400, v91
	ds_read_b64 v[43:44], v91 offset:7040
	v_add_u32_e32 v42, 0x800, v91
	v_add_u32_e32 v49, 0x1000, v91
	;; [unrolled: 1-line block ×3, first 2 shown]
	ds_read2_b64 v[26:29], v48 offset0:48 offset1:136
	ds_read2_b64 v[30:33], v42 offset0:96 offset1:184
	;; [unrolled: 1-line block ×4, first 2 shown]
	s_mov_b32 s4, 0x3f575c64
	s_mov_b32 s5, 0x3ed4b147
	;; [unrolled: 1-line block ×5, first 2 shown]
	s_waitcnt vmcnt(0) lgkmcnt(0)
	s_barrier
	v_mul_f32_e32 v46, v25, v13
	v_mul_f32_e32 v47, v24, v13
	;; [unrolled: 1-line block ×9, first 2 shown]
	v_fma_f32 v24, v24, v12, -v46
	v_fmac_f32_e32 v47, v25, v12
	v_mul_f32_e32 v54, v28, v9
	v_mul_f32_e32 v56, v30, v11
	;; [unrolled: 1-line block ×5, first 2 shown]
	v_fma_f32 v26, v26, v14, -v50
	v_fmac_f32_e32 v51, v27, v14
	v_fma_f32 v27, v28, v8, -v53
	v_fma_f32 v28, v30, v10, -v55
	;; [unrolled: 1-line block ×3, first 2 shown]
	v_fmac_f32_e32 v62, v35, v6
	v_fma_f32 v25, v43, v18, -v118
	v_add_f32_e32 v34, v22, v24
	v_add_f32_e32 v35, v23, v47
	v_mul_f32_e32 v58, v32, v5
	v_mul_f32_e32 v113, v36, v1
	;; [unrolled: 1-line block ×3, first 2 shown]
	v_fmac_f32_e32 v54, v29, v8
	v_fmac_f32_e32 v56, v31, v10
	v_fma_f32 v29, v32, v4, -v57
	v_fma_f32 v31, v36, v0, -v63
	;; [unrolled: 1-line block ×3, first 2 shown]
	v_add_f32_e32 v36, v24, v25
	v_sub_f32_e32 v38, v24, v25
	v_add_f32_e32 v24, v34, v26
	v_add_f32_e32 v34, v35, v51
	;; [unrolled: 1-line block ×4, first 2 shown]
	v_fmac_f32_e32 v58, v33, v4
	v_add_f32_e32 v24, v24, v28
	v_add_f32_e32 v34, v34, v56
	v_add_f32_e32 v24, v24, v29
	v_add_f32_e32 v34, v34, v58
	v_fmac_f32_e32 v113, v37, v0
	v_add_f32_e32 v24, v24, v30
	v_add_f32_e32 v34, v34, v62
	v_mul_f32_e32 v116, v41, v17
	v_mul_f32_e32 v117, v40, v17
	;; [unrolled: 1-line block ×3, first 2 shown]
	v_fmac_f32_e32 v115, v39, v2
	v_add_f32_e32 v24, v24, v31
	v_add_f32_e32 v34, v34, v113
	v_fma_f32 v33, v40, v16, -v116
	v_fmac_f32_e32 v117, v41, v16
	v_fmac_f32_e32 v119, v44, v18
	v_add_f32_e32 v24, v24, v32
	v_add_f32_e32 v34, v34, v115
	;; [unrolled: 1-line block ×3, first 2 shown]
	v_sub_f32_e32 v39, v47, v119
	v_mul_f32_e32 v40, 0xbf0a6770, v38
	v_add_f32_e32 v24, v24, v33
	v_add_f32_e32 v34, v34, v117
	v_mul_f32_e32 v46, 0xbf68dda4, v38
	v_mul_f32_e32 v55, 0xbf7d64f0, v38
	;; [unrolled: 1-line block ×5, first 2 shown]
	v_mov_b32_e32 v43, v40
	v_add_f32_e32 v24, v24, v25
	v_add_f32_e32 v25, v34, v119
	v_fma_f32 v34, v37, s4, -v40
	v_mul_f32_e32 v40, 0xbf68dda4, v39
	v_mov_b32_e32 v47, v46
	v_mul_f32_e32 v50, 0xbf7d64f0, v39
	v_mov_b32_e32 v57, v55
	;; [unrolled: 2-line block ×4, first 2 shown]
	v_fma_f32 v41, v36, s4, -v35
	v_fmac_f32_e32 v35, 0x3f575c64, v36
	v_fmac_f32_e32 v43, 0x3f575c64, v37
	v_fma_f32 v44, v36, s5, -v40
	v_fmac_f32_e32 v47, 0x3ed4b147, v37
	v_fmac_f32_e32 v40, 0x3ed4b147, v36
	v_fma_f32 v46, v37, s5, -v46
	v_fma_f32 v53, v36, s12, -v50
	v_fmac_f32_e32 v57, 0xbe11bafb, v37
	v_fmac_f32_e32 v50, 0xbe11bafb, v36
	v_fma_f32 v55, v37, s12, -v55
	;; [unrolled: 4-line block ×4, first 2 shown]
	v_add_f32_e32 v43, v23, v43
	v_add_f32_e32 v34, v23, v34
	v_add_f32_e32 v47, v23, v47
	v_add_f32_e32 v46, v23, v46
	v_add_f32_e32 v57, v23, v57
	v_add_f32_e32 v55, v23, v55
	v_add_f32_e32 v116, v23, v116
	v_add_f32_e32 v114, v23, v114
	v_add_f32_e32 v119, v23, v119
	v_add_f32_e32 v23, v23, v36
	v_add_f32_e32 v36, v26, v33
	v_sub_f32_e32 v26, v26, v33
	v_sub_f32_e32 v33, v51, v117
	v_mul_f32_e32 v38, 0xbf68dda4, v33
	v_add_f32_e32 v41, v22, v41
	v_add_f32_e32 v35, v22, v35
	;; [unrolled: 1-line block ×10, first 2 shown]
	v_fma_f32 v39, v36, s5, -v38
	v_add_f32_e32 v37, v51, v117
	v_add_f32_e32 v39, v39, v41
	v_mul_f32_e32 v41, 0xbf68dda4, v26
	v_fmac_f32_e32 v38, 0x3ed4b147, v36
	v_add_f32_e32 v35, v38, v35
	v_fma_f32 v38, v37, s5, -v41
	v_add_f32_e32 v34, v38, v34
	v_mul_f32_e32 v38, 0xbf4178ce, v33
	v_mov_b32_e32 v51, v41
	v_fma_f32 v41, v36, s14, -v38
	v_fmac_f32_e32 v51, 0x3ed4b147, v37
	v_add_f32_e32 v41, v41, v44
	v_mul_f32_e32 v44, 0xbf4178ce, v26
	v_add_f32_e32 v43, v51, v43
	v_mov_b32_e32 v51, v44
	v_fmac_f32_e32 v38, 0xbf27a4f4, v36
	v_fmac_f32_e32 v51, 0xbf27a4f4, v37
	v_add_f32_e32 v38, v38, v40
	v_fma_f32 v40, v37, s14, -v44
	v_mul_f32_e32 v44, 0x3e903f40, v33
	v_add_f32_e32 v47, v51, v47
	v_add_f32_e32 v40, v40, v46
	v_fma_f32 v46, v36, s15, -v44
	v_mul_f32_e32 v51, 0x3e903f40, v26
	v_add_f32_e32 v46, v46, v53
	v_mov_b32_e32 v53, v51
	v_fmac_f32_e32 v44, 0xbf75a155, v36
	v_fmac_f32_e32 v53, 0xbf75a155, v37
	v_add_f32_e32 v44, v44, v50
	v_fma_f32 v50, v37, s15, -v51
	v_mul_f32_e32 v51, 0x3f7d64f0, v33
	v_add_f32_e32 v53, v53, v57
	v_add_f32_e32 v50, v50, v55
	v_fma_f32 v55, v36, s12, -v51
	v_mul_f32_e32 v57, 0x3f7d64f0, v26
	v_add_f32_e32 v55, v55, v63
	v_mov_b32_e32 v63, v57
	v_fma_f32 v57, v37, s12, -v57
	v_mul_f32_e32 v26, 0x3f0a6770, v26
	v_add_f32_e32 v57, v57, v114
	v_mov_b32_e32 v114, v26
	v_fma_f32 v26, v37, s4, -v26
	v_fmac_f32_e32 v51, 0xbe11bafb, v36
	v_mul_f32_e32 v33, 0x3f0a6770, v33
	v_add_f32_e32 v23, v26, v23
	v_add_f32_e32 v26, v27, v32
	v_sub_f32_e32 v27, v27, v32
	v_sub_f32_e32 v32, v54, v115
	v_add_f32_e32 v51, v51, v59
	v_fma_f32 v59, v36, s4, -v33
	v_fmac_f32_e32 v33, 0x3f575c64, v36
	v_mul_f32_e32 v36, 0xbf7d64f0, v32
	v_fmac_f32_e32 v63, 0xbe11bafb, v37
	v_fmac_f32_e32 v114, 0x3f575c64, v37
	v_fma_f32 v37, v26, s12, -v36
	v_add_f32_e32 v22, v33, v22
	v_add_f32_e32 v33, v54, v115
	;; [unrolled: 1-line block ×3, first 2 shown]
	v_mul_f32_e32 v39, 0xbf7d64f0, v27
	v_fmac_f32_e32 v36, 0xbe11bafb, v26
	v_add_f32_e32 v35, v36, v35
	v_fma_f32 v36, v33, s12, -v39
	v_add_f32_e32 v34, v36, v34
	v_mul_f32_e32 v36, 0x3e903f40, v32
	v_mov_b32_e32 v54, v39
	v_fma_f32 v39, v26, s15, -v36
	v_add_f32_e32 v39, v39, v41
	v_mul_f32_e32 v41, 0x3e903f40, v27
	v_fmac_f32_e32 v36, 0xbf75a155, v26
	v_add_f32_e32 v36, v36, v38
	v_fma_f32 v38, v33, s15, -v41
	v_fmac_f32_e32 v54, 0xbe11bafb, v33
	v_add_f32_e32 v38, v38, v40
	v_mul_f32_e32 v40, 0x3f68dda4, v32
	v_add_f32_e32 v43, v54, v43
	v_mov_b32_e32 v54, v41
	v_fma_f32 v41, v26, s5, -v40
	v_fmac_f32_e32 v54, 0xbf75a155, v33
	v_add_f32_e32 v41, v41, v46
	v_mul_f32_e32 v46, 0x3f68dda4, v27
	v_add_f32_e32 v47, v54, v47
	v_mov_b32_e32 v54, v46
	v_fmac_f32_e32 v40, 0x3ed4b147, v26
	v_fmac_f32_e32 v54, 0x3ed4b147, v33
	v_add_f32_e32 v40, v40, v44
	v_fma_f32 v44, v33, s5, -v46
	v_mul_f32_e32 v46, 0xbf0a6770, v32
	v_add_f32_e32 v53, v54, v53
	v_add_f32_e32 v44, v44, v50
	v_fma_f32 v50, v26, s4, -v46
	v_mul_f32_e32 v54, 0xbf0a6770, v27
	v_fmac_f32_e32 v46, 0x3f575c64, v26
	v_mul_f32_e32 v32, 0xbf4178ce, v32
	v_mul_f32_e32 v27, 0xbf4178ce, v27
	v_add_f32_e32 v50, v50, v55
	v_mov_b32_e32 v55, v54
	v_add_f32_e32 v46, v46, v51
	v_fma_f32 v51, v33, s4, -v54
	v_fma_f32 v54, v26, s14, -v32
	v_fmac_f32_e32 v32, 0xbf27a4f4, v26
	v_fma_f32 v26, v33, s14, -v27
	v_add_f32_e32 v23, v26, v23
	v_add_f32_e32 v26, v28, v31
	v_sub_f32_e32 v28, v28, v31
	v_sub_f32_e32 v31, v56, v113
	v_add_f32_e32 v51, v51, v57
	v_mov_b32_e32 v57, v27
	v_add_f32_e32 v22, v32, v22
	v_mul_f32_e32 v32, 0xbf4178ce, v31
	v_fmac_f32_e32 v55, 0x3f575c64, v33
	v_fmac_f32_e32 v57, 0xbf27a4f4, v33
	v_fma_f32 v33, v26, s14, -v32
	v_add_f32_e32 v27, v56, v113
	v_add_f32_e32 v33, v33, v37
	v_mul_f32_e32 v37, 0xbf4178ce, v28
	v_fmac_f32_e32 v32, 0xbf27a4f4, v26
	v_add_f32_e32 v32, v32, v35
	v_fma_f32 v35, v27, s14, -v37
	v_add_f32_e32 v34, v35, v34
	v_mul_f32_e32 v35, 0x3f7d64f0, v31
	v_mov_b32_e32 v56, v37
	v_fma_f32 v37, v26, s12, -v35
	v_add_f32_e32 v37, v37, v39
	v_mul_f32_e32 v39, 0x3f7d64f0, v28
	v_fmac_f32_e32 v35, 0xbe11bafb, v26
	v_add_f32_e32 v35, v35, v36
	v_fma_f32 v36, v27, s12, -v39
	v_fmac_f32_e32 v56, 0xbf27a4f4, v27
	v_add_f32_e32 v36, v36, v38
	v_mul_f32_e32 v38, 0xbf0a6770, v31
	v_add_f32_e32 v43, v56, v43
	v_mov_b32_e32 v56, v39
	v_fma_f32 v39, v26, s4, -v38
	v_fmac_f32_e32 v56, 0xbe11bafb, v27
	v_add_f32_e32 v39, v39, v41
	v_mul_f32_e32 v41, 0xbf0a6770, v28
	v_fmac_f32_e32 v38, 0x3f575c64, v26
	v_add_f32_e32 v47, v56, v47
	v_mov_b32_e32 v56, v41
	v_add_f32_e32 v38, v38, v40
	v_fma_f32 v40, v27, s4, -v41
	v_mul_f32_e32 v41, 0xbe903f40, v31
	v_add_f32_e32 v40, v40, v44
	v_fma_f32 v44, v26, s15, -v41
	v_add_f32_e32 v44, v44, v50
	v_mul_f32_e32 v50, 0xbe903f40, v28
	v_fmac_f32_e32 v41, 0xbf75a155, v26
	v_add_f32_e32 v63, v63, v116
	v_add_f32_e32 v59, v59, v118
	v_fmac_f32_e32 v56, 0x3f575c64, v27
	v_add_f32_e32 v41, v41, v46
	v_fma_f32 v46, v27, s15, -v50
	v_mul_f32_e32 v31, 0x3f68dda4, v31
	v_mul_f32_e32 v28, 0x3f68dda4, v28
	v_add_f32_e32 v114, v114, v119
	v_add_f32_e32 v55, v55, v63
	;; [unrolled: 1-line block ×4, first 2 shown]
	v_mov_b32_e32 v56, v50
	v_add_f32_e32 v46, v46, v51
	v_fma_f32 v50, v26, s5, -v31
	v_mov_b32_e32 v51, v28
	v_fmac_f32_e32 v31, 0x3ed4b147, v26
	v_sub_f32_e32 v63, v29, v30
	v_add_f32_e32 v57, v57, v114
	v_fmac_f32_e32 v56, 0xbf75a155, v27
	v_add_f32_e32 v50, v50, v54
	v_fmac_f32_e32 v51, 0x3ed4b147, v27
	v_add_f32_e32 v54, v31, v22
	v_fma_f32 v22, v27, s5, -v28
	v_add_f32_e32 v59, v58, v62
	v_sub_f32_e32 v58, v58, v62
	v_mul_f32_e32 v27, 0xbe903f40, v63
	v_add_f32_e32 v55, v56, v55
	v_add_f32_e32 v51, v51, v57
	;; [unrolled: 1-line block ×4, first 2 shown]
	v_mul_f32_e32 v26, 0xbe903f40, v58
	v_mov_b32_e32 v23, v27
	v_fma_f32 v27, v59, s15, -v27
	v_fma_f32 v22, v57, s15, -v26
	v_fmac_f32_e32 v26, 0xbf75a155, v57
	v_add_f32_e32 v27, v27, v34
	v_mul_f32_e32 v34, 0xbf4178ce, v58
	v_add_f32_e32 v26, v26, v32
	v_mul_f32_e32 v30, 0x3f0a6770, v58
	v_mul_f32_e32 v31, 0x3f0a6770, v63
	v_fma_f32 v32, v57, s14, -v34
	v_fmac_f32_e32 v34, 0xbf27a4f4, v57
	v_fma_f32 v28, v57, s4, -v30
	v_mov_b32_e32 v29, v31
	v_fma_f32 v31, v59, s4, -v31
	v_add_f32_e32 v32, v32, v39
	v_add_f32_e32 v34, v34, v38
	v_mul_f32_e32 v38, 0x3f68dda4, v58
	v_mul_f32_e32 v39, 0x3f68dda4, v63
	v_add_f32_e32 v28, v28, v37
	v_fmac_f32_e32 v30, 0x3f575c64, v57
	v_add_f32_e32 v31, v31, v36
	v_fma_f32 v36, v57, s5, -v38
	v_mov_b32_e32 v37, v39
	v_fma_f32 v39, v59, s5, -v39
	v_fmac_f32_e32 v23, 0xbf75a155, v59
	v_add_f32_e32 v30, v30, v35
	v_mul_f32_e32 v35, 0xbf4178ce, v63
	v_add_f32_e32 v36, v36, v44
	v_fmac_f32_e32 v38, 0x3ed4b147, v57
	v_add_f32_e32 v39, v39, v46
	v_mul_f32_e32 v44, 0xbf7d64f0, v63
	v_lshrrev_b32_e32 v46, 3, v92
	v_add_f32_e32 v22, v22, v33
	v_add_f32_e32 v23, v23, v43
	v_mov_b32_e32 v33, v35
	v_fma_f32 v35, v59, s14, -v35
	v_add_f32_e32 v38, v38, v41
	v_mul_f32_e32 v43, 0xbf7d64f0, v58
	v_mov_b32_e32 v41, v44
	v_mul_u32_u24_e32 v46, 0x58, v46
	v_add_f32_e32 v35, v35, v40
	v_fma_f32 v40, v57, s12, -v43
	v_fmac_f32_e32 v41, 0xbe11bafb, v59
	v_or_b32_e32 v45, v46, v45
	v_fmac_f32_e32 v29, 0x3f575c64, v59
	v_fmac_f32_e32 v33, 0xbf27a4f4, v59
	;; [unrolled: 1-line block ×3, first 2 shown]
	v_add_f32_e32 v40, v40, v50
	v_add_f32_e32 v41, v41, v51
	v_fmac_f32_e32 v43, 0xbe11bafb, v57
	v_fma_f32 v44, v59, s12, -v44
	v_lshl_add_u32 v113, v45, 3, v93
	v_add_f32_e32 v29, v29, v47
	v_add_f32_e32 v33, v33, v53
	v_add_f32_e32 v37, v37, v55
	v_add_f32_e32 v43, v43, v54
	v_add_f32_e32 v44, v44, v56
	ds_write2_b64 v113, v[24:25], v[22:23] offset1:8
	ds_write2_b64 v113, v[28:29], v[32:33] offset0:16 offset1:24
	ds_write2_b64 v113, v[36:37], v[40:41] offset0:32 offset1:40
	;; [unrolled: 1-line block ×4, first 2 shown]
	ds_write_b64 v113, v[26:27] offset:640
	v_mad_u64_u32 v[40:41], s[16:17], v92, s16, v[20:21]
	s_waitcnt lgkmcnt(0)
	s_barrier
	global_load_dwordx4 v[32:35], v[40:41], off offset:688
	global_load_dwordx4 v[28:31], v[40:41], off offset:704
	;; [unrolled: 1-line block ×5, first 2 shown]
	ds_read2_b64 v[43:46], v91 offset1:88
	ds_read2_b64 v[53:56], v48 offset0:48 offset1:136
	ds_read2_b64 v[114:117], v42 offset0:96 offset1:184
	;; [unrolled: 1-line block ×4, first 2 shown]
	ds_read_b64 v[40:41], v91 offset:7040
	s_waitcnt vmcnt(4) lgkmcnt(5)
	v_mul_f32_e32 v47, v46, v33
	v_fma_f32 v47, v45, v32, -v47
	v_mul_f32_e32 v45, v45, v33
	v_fmac_f32_e32 v45, v46, v32
	s_waitcnt lgkmcnt(4)
	v_mul_f32_e32 v46, v54, v35
	s_waitcnt vmcnt(2) lgkmcnt(2)
	v_mul_f32_e32 v58, v119, v27
	v_mul_f32_e32 v59, v118, v27
	v_fma_f32 v46, v53, v34, -v46
	v_mul_f32_e32 v50, v53, v35
	v_mul_f32_e32 v53, v55, v29
	v_fma_f32 v58, v118, v26, -v58
	v_fmac_f32_e32 v59, v119, v26
	s_waitcnt vmcnt(0) lgkmcnt(0)
	v_mul_f32_e32 v118, v41, v39
	v_mul_f32_e32 v119, v40, v39
	v_fmac_f32_e32 v50, v54, v34
	v_mul_f32_e32 v51, v56, v29
	v_fmac_f32_e32 v53, v56, v28
	v_mul_f32_e32 v54, v115, v31
	v_mul_f32_e32 v56, v117, v25
	v_fma_f32 v118, v40, v38, -v118
	v_fmac_f32_e32 v119, v41, v38
	v_fma_f32 v51, v55, v28, -v51
	v_fma_f32 v54, v114, v30, -v54
	v_mul_f32_e32 v55, v114, v31
	v_fma_f32 v56, v116, v24, -v56
	v_mul_f32_e32 v57, v116, v25
	v_mul_f32_e32 v62, v121, v21
	;; [unrolled: 1-line block ×4, first 2 shown]
	v_sub_f32_e32 v41, v45, v119
	v_sub_f32_e32 v129, v47, v118
	v_fmac_f32_e32 v55, v115, v30
	v_fmac_f32_e32 v57, v117, v24
	v_fma_f32 v62, v120, v20, -v62
	v_mul_f32_e32 v63, v120, v21
	v_fma_f32 v114, v122, v22, -v114
	v_mul_f32_e32 v115, v122, v23
	;; [unrolled: 2-line block ×3, first 2 shown]
	v_add_f32_e32 v40, v47, v118
	v_mul_f32_e32 v120, 0xbf0a6770, v41
	v_mul_f32_e32 v122, 0xbf68dda4, v41
	;; [unrolled: 1-line block ×10, first 2 shown]
	v_fmac_f32_e32 v63, v121, v20
	v_fmac_f32_e32 v115, v123, v22
	;; [unrolled: 1-line block ×3, first 2 shown]
	v_fma_f32 v121, v40, s4, -v120
	v_fmac_f32_e32 v120, 0x3f575c64, v40
	v_fma_f32 v123, v40, s5, -v122
	v_fmac_f32_e32 v122, 0x3ed4b147, v40
	;; [unrolled: 2-line block ×5, first 2 shown]
	v_add_f32_e32 v40, v45, v119
	v_mov_b32_e32 v131, v130
	v_mov_b32_e32 v133, v132
	;; [unrolled: 1-line block ×5, first 2 shown]
	v_fmac_f32_e32 v131, 0x3f575c64, v40
	v_fma_f32 v130, v40, s4, -v130
	v_fmac_f32_e32 v133, 0x3ed4b147, v40
	v_fma_f32 v132, v40, s5, -v132
	;; [unrolled: 2-line block ×5, first 2 shown]
	v_add_f32_e32 v47, v43, v47
	v_add_f32_e32 v45, v44, v45
	;; [unrolled: 1-line block ×27, first 2 shown]
	v_sub_f32_e32 v117, v50, v117
	v_add_f32_e32 v47, v46, v116
	v_mul_f32_e32 v45, 0xbf68dda4, v117
	v_add_f32_e32 v121, v43, v121
	v_add_f32_e32 v120, v43, v120
	;; [unrolled: 1-line block ×9, first 2 shown]
	v_fma_f32 v43, v47, s5, -v45
	v_add_f32_e32 v43, v43, v121
	v_add_f32_e32 v121, v53, v115
	v_sub_f32_e32 v115, v53, v115
	v_add_f32_e32 v41, v41, v119
	v_sub_f32_e32 v116, v46, v116
	v_add_f32_e32 v119, v51, v114
	v_mul_f32_e32 v50, 0xbf7d64f0, v115
	v_mul_f32_e32 v46, 0xbf68dda4, v116
	v_sub_f32_e32 v114, v51, v114
	v_fma_f32 v51, v119, s12, -v50
	v_add_f32_e32 v130, v44, v130
	v_add_f32_e32 v132, v44, v132
	;; [unrolled: 1-line block ×4, first 2 shown]
	v_mov_b32_e32 v44, v46
	v_add_f32_e32 v43, v51, v43
	v_mul_f32_e32 v51, 0xbf7d64f0, v114
	v_fmac_f32_e32 v44, 0x3ed4b147, v118
	v_mov_b32_e32 v53, v51
	v_add_f32_e32 v44, v44, v129
	v_fmac_f32_e32 v53, 0xbe11bafb, v121
	v_sub_f32_e32 v142, v55, v63
	v_add_f32_e32 v44, v53, v44
	v_add_f32_e32 v129, v54, v62
	v_mul_f32_e32 v53, 0xbf4178ce, v142
	v_sub_f32_e32 v140, v54, v62
	v_fma_f32 v54, v129, s14, -v53
	v_add_f32_e32 v43, v54, v43
	v_mul_f32_e32 v54, 0xbf4178ce, v140
	v_add_f32_e32 v141, v55, v63
	v_mov_b32_e32 v55, v54
	v_fmac_f32_e32 v55, 0xbf27a4f4, v141
	v_add_f32_e32 v145, v57, v59
	v_sub_f32_e32 v59, v57, v59
	v_fmac_f32_e32 v45, 0x3ed4b147, v47
	v_add_f32_e32 v44, v55, v44
	v_add_f32_e32 v143, v56, v58
	v_mul_f32_e32 v55, 0xbe903f40, v59
	v_add_f32_e32 v45, v45, v120
	v_fma_f32 v46, v118, s5, -v46
	v_fmac_f32_e32 v50, 0xbe11bafb, v119
	v_sub_f32_e32 v144, v56, v58
	v_fma_f32 v56, v143, s15, -v55
	v_add_f32_e32 v46, v46, v130
	v_add_f32_e32 v45, v50, v45
	v_fma_f32 v50, v121, s12, -v51
	v_fmac_f32_e32 v53, 0xbf27a4f4, v129
	v_add_f32_e32 v43, v56, v43
	v_mul_f32_e32 v56, 0xbe903f40, v144
	v_add_f32_e32 v46, v50, v46
	v_add_f32_e32 v45, v53, v45
	v_fma_f32 v50, v141, s14, -v54
	v_fmac_f32_e32 v55, 0xbf75a155, v143
	v_add_f32_e32 v46, v50, v46
	v_add_f32_e32 v62, v55, v45
	v_fma_f32 v45, v145, s15, -v56
	v_mul_f32_e32 v50, 0xbf4178ce, v117
	v_add_f32_e32 v63, v45, v46
	v_fma_f32 v45, v47, s14, -v50
	v_mul_f32_e32 v53, 0x3e903f40, v115
	v_add_f32_e32 v45, v45, v123
	v_mul_f32_e32 v51, 0xbf4178ce, v116
	v_fma_f32 v54, v119, s15, -v53
	v_mov_b32_e32 v46, v51
	v_add_f32_e32 v45, v54, v45
	v_mul_f32_e32 v54, 0x3e903f40, v114
	v_fmac_f32_e32 v46, 0xbf27a4f4, v118
	v_mov_b32_e32 v55, v54
	v_add_f32_e32 v46, v46, v131
	v_fmac_f32_e32 v55, 0xbf75a155, v121
	v_add_f32_e32 v46, v55, v46
	v_mul_f32_e32 v55, 0x3f7d64f0, v142
	v_mov_b32_e32 v57, v56
	v_fma_f32 v56, v129, s12, -v55
	v_fmac_f32_e32 v57, 0xbf75a155, v145
	v_add_f32_e32 v45, v56, v45
	v_mul_f32_e32 v56, 0x3f7d64f0, v140
	v_add_f32_e32 v44, v57, v44
	v_mov_b32_e32 v57, v56
	v_fmac_f32_e32 v57, 0xbe11bafb, v141
	v_fmac_f32_e32 v50, 0xbf27a4f4, v47
	v_add_f32_e32 v46, v57, v46
	v_mul_f32_e32 v57, 0x3f0a6770, v59
	v_add_f32_e32 v50, v50, v122
	v_fma_f32 v51, v118, s14, -v51
	v_fmac_f32_e32 v53, 0xbf75a155, v119
	v_fma_f32 v58, v143, s4, -v57
	v_add_f32_e32 v51, v51, v132
	v_add_f32_e32 v50, v53, v50
	v_fma_f32 v53, v121, s15, -v54
	v_add_f32_e32 v45, v58, v45
	v_mul_f32_e32 v58, 0x3f0a6770, v144
	v_add_f32_e32 v51, v53, v51
	v_fmac_f32_e32 v55, 0xbe11bafb, v129
	v_fma_f32 v53, v141, s12, -v56
	v_add_f32_e32 v50, v55, v50
	v_add_f32_e32 v51, v53, v51
	v_fmac_f32_e32 v57, 0x3f575c64, v143
	v_fma_f32 v53, v145, s4, -v58
	v_mul_f32_e32 v55, 0x3e903f40, v117
	v_add_f32_e32 v50, v57, v50
	v_add_f32_e32 v51, v53, v51
	v_fma_f32 v53, v47, s15, -v55
	v_mul_f32_e32 v57, 0x3f68dda4, v115
	v_mov_b32_e32 v120, v58
	v_add_f32_e32 v53, v53, v125
	v_mul_f32_e32 v56, 0x3e903f40, v116
	v_fma_f32 v58, v119, s5, -v57
	v_fmac_f32_e32 v120, 0x3f575c64, v145
	v_mov_b32_e32 v54, v56
	v_add_f32_e32 v53, v58, v53
	v_mul_f32_e32 v58, 0x3f68dda4, v114
	v_add_f32_e32 v46, v120, v46
	v_fmac_f32_e32 v54, 0xbf75a155, v118
	v_mov_b32_e32 v120, v58
	v_add_f32_e32 v54, v54, v133
	v_fmac_f32_e32 v120, 0x3ed4b147, v121
	v_add_f32_e32 v54, v120, v54
	v_mul_f32_e32 v120, 0xbf0a6770, v142
	v_fma_f32 v122, v129, s4, -v120
	v_add_f32_e32 v53, v122, v53
	v_mul_f32_e32 v122, 0xbf0a6770, v140
	v_mov_b32_e32 v123, v122
	v_fmac_f32_e32 v123, 0x3f575c64, v141
	v_fmac_f32_e32 v55, 0xbf75a155, v47
	v_add_f32_e32 v54, v123, v54
	v_mul_f32_e32 v123, 0xbf4178ce, v59
	v_add_f32_e32 v55, v55, v124
	v_fma_f32 v56, v118, s15, -v56
	v_fmac_f32_e32 v57, 0x3ed4b147, v119
	v_fma_f32 v125, v143, s14, -v123
	v_add_f32_e32 v56, v56, v134
	v_add_f32_e32 v55, v57, v55
	v_fma_f32 v57, v121, s5, -v58
	v_add_f32_e32 v53, v125, v53
	v_mul_f32_e32 v125, 0xbf4178ce, v144
	v_add_f32_e32 v56, v57, v56
	v_fmac_f32_e32 v120, 0x3f575c64, v129
	v_fma_f32 v57, v141, s4, -v122
	v_add_f32_e32 v55, v120, v55
	v_add_f32_e32 v56, v57, v56
	v_fmac_f32_e32 v123, 0xbf27a4f4, v143
	v_fma_f32 v57, v145, s14, -v125
	v_mul_f32_e32 v120, 0x3f7d64f0, v117
	v_add_f32_e32 v55, v123, v55
	v_add_f32_e32 v56, v57, v56
	v_fma_f32 v57, v47, s12, -v120
	v_mul_f32_e32 v123, 0xbf0a6770, v115
	v_add_f32_e32 v57, v57, v127
	v_mul_f32_e32 v122, 0x3f7d64f0, v116
	v_fma_f32 v124, v119, s4, -v123
	v_mov_b32_e32 v58, v122
	v_add_f32_e32 v57, v124, v57
	v_mul_f32_e32 v124, 0xbf0a6770, v114
	v_mov_b32_e32 v130, v125
	v_fmac_f32_e32 v58, 0xbe11bafb, v118
	v_mov_b32_e32 v125, v124
	v_add_f32_e32 v58, v58, v135
	v_fmac_f32_e32 v125, 0x3f575c64, v121
	v_fmac_f32_e32 v120, 0xbe11bafb, v47
	v_mul_f32_e32 v117, 0x3f0a6770, v117
	v_add_f32_e32 v58, v125, v58
	v_mul_f32_e32 v125, 0xbe903f40, v142
	v_add_f32_e32 v120, v120, v126
	v_fma_f32 v126, v47, s4, -v117
	v_mul_f32_e32 v116, 0x3f0a6770, v116
	v_fma_f32 v127, v129, s15, -v125
	v_fma_f32 v122, v118, s12, -v122
	v_add_f32_e32 v126, v126, v128
	v_mov_b32_e32 v128, v116
	v_fmac_f32_e32 v130, 0xbf27a4f4, v145
	v_add_f32_e32 v57, v127, v57
	v_mul_f32_e32 v127, 0xbe903f40, v140
	v_add_f32_e32 v122, v122, v136
	v_fmac_f32_e32 v128, 0x3f575c64, v118
	v_fmac_f32_e32 v117, 0x3f575c64, v47
	v_fma_f32 v116, v118, s4, -v116
	v_fmac_f32_e32 v123, 0x3f575c64, v119
	v_fma_f32 v118, v121, s4, -v124
	v_mul_f32_e32 v115, 0xbf4178ce, v115
	v_mul_f32_e32 v114, 0xbf4178ce, v114
	v_add_f32_e32 v54, v130, v54
	v_mov_b32_e32 v130, v127
	v_add_f32_e32 v47, v117, v138
	v_add_f32_e32 v116, v116, v139
	;; [unrolled: 1-line block ×4, first 2 shown]
	v_fma_f32 v120, v119, s14, -v115
	v_mov_b32_e32 v122, v114
	v_fmac_f32_e32 v115, 0xbf27a4f4, v119
	v_fma_f32 v114, v121, s14, -v114
	v_fmac_f32_e32 v125, 0xbf75a155, v129
	v_fmac_f32_e32 v130, 0xbf75a155, v141
	v_add_f32_e32 v47, v115, v47
	v_add_f32_e32 v114, v114, v116
	;; [unrolled: 1-line block ×3, first 2 shown]
	v_fma_f32 v116, v141, s15, -v127
	v_mul_f32_e32 v117, 0x3f68dda4, v142
	v_add_f32_e32 v58, v130, v58
	v_mul_f32_e32 v130, 0x3f68dda4, v59
	v_add_f32_e32 v120, v120, v126
	v_add_f32_e32 v116, v116, v118
	v_fma_f32 v118, v129, s5, -v117
	v_mul_f32_e32 v119, 0x3f68dda4, v140
	v_fma_f32 v131, v143, s5, -v130
	v_add_f32_e32 v128, v128, v137
	v_fmac_f32_e32 v122, 0xbf27a4f4, v121
	v_add_f32_e32 v118, v118, v120
	v_mov_b32_e32 v120, v119
	v_fmac_f32_e32 v117, 0x3ed4b147, v129
	v_add_f32_e32 v57, v131, v57
	v_mul_f32_e32 v131, 0x3f68dda4, v144
	v_add_f32_e32 v122, v122, v128
	v_fmac_f32_e32 v120, 0x3ed4b147, v141
	v_add_f32_e32 v47, v117, v47
	v_fma_f32 v117, v141, s5, -v119
	v_mov_b32_e32 v119, s13
	v_fmac_f32_e32 v130, 0x3ed4b147, v143
	v_add_f32_e32 v120, v120, v122
	v_addc_co_u32_e64 v121, vcc, 0, v119, s[2:3]
	v_add_f32_e32 v119, v117, v114
	v_add_f32_e32 v114, v130, v115
	v_fma_f32 v115, v145, s5, -v131
	v_mul_f32_e32 v59, 0xbf7d64f0, v59
	v_mul_f32_e32 v122, 0xbf7d64f0, v144
	v_mov_b32_e32 v132, v131
	v_add_f32_e32 v115, v115, v116
	v_fma_f32 v116, v143, s12, -v59
	v_mov_b32_e32 v117, v122
	v_fmac_f32_e32 v59, 0xbe11bafb, v143
	v_fmac_f32_e32 v132, 0x3ed4b147, v145
	s_movk_i32 s2, 0x1000
	v_add_f32_e32 v116, v116, v118
	v_fmac_f32_e32 v117, 0xbe11bafb, v145
	v_add_f32_e32 v118, v59, v47
	v_fma_f32 v47, v145, s12, -v122
	v_add_f32_e32 v58, v132, v58
	v_add_f32_e32 v117, v117, v120
	;; [unrolled: 1-line block ×3, first 2 shown]
	ds_write2_b64 v91, v[40:41], v[43:44] offset1:88
	ds_write2_b64 v48, v[45:46], v[53:54] offset0:48 offset1:136
	ds_write2_b64 v42, v[57:58], v[116:117] offset0:96 offset1:184
	;; [unrolled: 1-line block ×4, first 2 shown]
	ds_write_b64 v91, v[62:63] offset:7040
	v_add_co_u32_e32 v40, vcc, s2, v64
	s_movk_i32 s3, 0x1e40
	v_addc_co_u32_e32 v41, vcc, 0, v121, vcc
	s_waitcnt lgkmcnt(0)
	s_barrier
	global_load_dwordx2 v[50:51], v[40:41], off offset:3648
	v_add_co_u32_e32 v40, vcc, s3, v64
	v_addc_co_u32_e32 v41, vcc, 0, v121, vcc
	global_load_dwordx2 v[57:58], v[40:41], off offset:704
	s_movk_i32 s2, 0x3000
	v_add_co_u32_e32 v43, vcc, s2, v64
	v_addc_co_u32_e32 v44, vcc, 0, v121, vcc
	global_load_dwordx2 v[114:115], v[43:44], off offset:32
	global_load_dwordx2 v[116:117], v[43:44], off offset:736
	;; [unrolled: 1-line block ×8, first 2 shown]
	ds_read2_b64 v[43:46], v91 offset1:88
	ds_read2_b64 v[53:56], v49 offset0:60 offset1:148
	s_waitcnt vmcnt(9) lgkmcnt(1)
	v_mul_f32_e32 v47, v44, v51
	v_mul_f32_e32 v131, v43, v51
	v_fma_f32 v130, v43, v50, -v47
	v_fmac_f32_e32 v131, v44, v50
	s_waitcnt vmcnt(7) lgkmcnt(0)
	v_mul_f32_e32 v47, v54, v115
	v_mul_f32_e32 v43, v46, v58
	;; [unrolled: 1-line block ×3, first 2 shown]
	v_fma_f32 v43, v45, v57, -v43
	v_fmac_f32_e32 v44, v46, v57
	ds_write2_b64 v91, v[130:131], v[43:44] offset1:88
	ds_read2_b64 v[43:46], v42 offset0:96 offset1:228
	v_fma_f32 v50, v53, v114, -v47
	v_mul_f32_e32 v51, v53, v115
	s_waitcnt vmcnt(6)
	v_mul_f32_e32 v47, v56, v117
	v_mul_f32_e32 v58, v55, v117
	v_fmac_f32_e32 v51, v54, v114
	v_fma_f32 v57, v55, v116, -v47
	v_fmac_f32_e32 v58, v56, v116
	ds_read2_b64 v[53:56], v48 offset0:48 offset1:136
	ds_read2_b64 v[114:117], v52 offset0:108 offset1:196
	s_waitcnt vmcnt(5) lgkmcnt(2)
	v_mul_f32_e32 v47, v46, v119
	v_mul_f32_e32 v131, v45, v119
	v_fma_f32 v130, v45, v118, -v47
	v_fmac_f32_e32 v131, v46, v118
	s_waitcnt vmcnt(4) lgkmcnt(1)
	v_mul_f32_e32 v45, v54, v121
	v_mul_f32_e32 v46, v53, v121
	ds_write2_b64 v49, v[50:51], v[57:58] offset0:60 offset1:148
	s_waitcnt vmcnt(3)
	v_mul_f32_e32 v47, v56, v123
	v_mul_f32_e32 v51, v55, v123
	v_fma_f32 v45, v53, v120, -v45
	v_fmac_f32_e32 v46, v54, v120
	v_fma_f32 v50, v55, v122, -v47
	v_fmac_f32_e32 v51, v56, v122
	ds_write2_b64 v48, v[45:46], v[50:51] offset0:48 offset1:136
	s_waitcnt vmcnt(1)
	v_mul_f32_e32 v47, v44, v127
	v_mul_f32_e32 v51, v43, v127
	s_waitcnt lgkmcnt(2)
	v_mul_f32_e32 v45, v115, v125
	v_mul_f32_e32 v46, v114, v125
	v_fma_f32 v50, v43, v126, -v47
	v_fmac_f32_e32 v51, v44, v126
	s_waitcnt vmcnt(0)
	v_mul_f32_e32 v43, v117, v129
	v_mul_f32_e32 v44, v116, v129
	v_fma_f32 v45, v114, v124, -v45
	v_fmac_f32_e32 v46, v115, v124
	v_fma_f32 v43, v116, v128, -v43
	v_fmac_f32_e32 v44, v117, v128
	ds_write2_b64 v42, v[50:51], v[130:131] offset0:96 offset1:228
	ds_write2_b64 v52, v[45:46], v[43:44] offset0:108 offset1:196
	s_and_saveexec_b64 s[2:3], s[0:1]
	s_cbranch_execz .LBB0_17
; %bb.16:
	global_load_dwordx2 v[43:44], v[40:41], off offset:3520
	v_add_co_u32_e32 v40, vcc, 0x1000, v40
	v_addc_co_u32_e32 v41, vcc, 0, v41, vcc
	global_load_dwordx2 v[40:41], v[40:41], off offset:3296
	ds_read_b64 v[45:46], v91 offset:3520
	ds_read_b64 v[50:51], v91 offset:7392
	s_waitcnt vmcnt(1) lgkmcnt(1)
	v_mul_f32_e32 v47, v46, v44
	v_mul_f32_e32 v54, v45, v44
	v_fma_f32 v53, v45, v43, -v47
	v_fmac_f32_e32 v54, v46, v43
	ds_write_b64 v91, v[53:54] offset:3520
	s_waitcnt vmcnt(0) lgkmcnt(1)
	v_mul_f32_e32 v43, v51, v41
	v_mul_f32_e32 v44, v50, v41
	v_fma_f32 v43, v50, v40, -v43
	v_fmac_f32_e32 v44, v51, v40
	ds_write_b64 v91, v[43:44] offset:7392
.LBB0_17:
	s_or_b64 exec, exec, s[2:3]
	s_waitcnt lgkmcnt(0)
	s_barrier
	ds_read2_b64 v[44:47], v91 offset1:88
	ds_read2_b64 v[40:43], v42 offset0:96 offset1:228
	ds_read2_b64 v[56:59], v49 offset0:60 offset1:148
	;; [unrolled: 1-line block ×4, first 2 shown]
	s_and_saveexec_b64 s[2:3], s[0:1]
	s_cbranch_execz .LBB0_19
; %bb.18:
	ds_read_b64 v[62:63], v91 offset:3520
	ds_read_b64 v[60:61], v91 offset:7392
.LBB0_19:
	s_or_b64 exec, exec, s[2:3]
	s_waitcnt lgkmcnt(3)
	v_sub_f32_e32 v116, v44, v42
	v_sub_f32_e32 v117, v45, v43
	s_waitcnt lgkmcnt(2)
	v_sub_f32_e32 v120, v46, v56
	v_sub_f32_e32 v121, v47, v57
	;; [unrolled: 3-line block ×3, first 2 shown]
	v_sub_f32_e32 v42, v62, v60
	v_sub_f32_e32 v43, v63, v61
	v_fma_f32 v114, v44, 2.0, -v116
	v_fma_f32 v115, v45, 2.0, -v117
	;; [unrolled: 1-line block ×4, first 2 shown]
	v_sub_f32_e32 v46, v48, v58
	v_sub_f32_e32 v47, v49, v59
	;; [unrolled: 1-line block ×4, first 2 shown]
	v_fma_f32 v54, v40, 2.0, -v56
	v_fma_f32 v55, v41, 2.0, -v57
	;; [unrolled: 1-line block ×8, first 2 shown]
	s_barrier
	ds_write_b128 v96, v[114:117]
	ds_write_b128 v97, v[118:121]
	;; [unrolled: 1-line block ×5, first 2 shown]
	s_and_saveexec_b64 s[2:3], s[0:1]
	s_cbranch_execz .LBB0_21
; %bb.20:
	ds_write_b128 v99, v[40:43]
.LBB0_21:
	s_or_b64 exec, exec, s[2:3]
	v_add_u32_e32 v52, 0x1000, v91
	s_waitcnt lgkmcnt(0)
	s_barrier
	v_add_u32_e32 v44, 0x800, v91
	ds_read2_b64 v[60:63], v52 offset0:60 offset1:148
	v_add_u32_e32 v52, 0x400, v91
	v_add_u32_e32 v56, 0x1400, v91
	ds_read2_b64 v[48:51], v91 offset1:88
	ds_read2_b64 v[44:47], v44 offset0:96 offset1:228
	ds_read2_b64 v[52:55], v52 offset0:48 offset1:136
	;; [unrolled: 1-line block ×3, first 2 shown]
	s_and_saveexec_b64 s[2:3], s[0:1]
	s_cbranch_execz .LBB0_23
; %bb.22:
	ds_read_b64 v[40:41], v91 offset:3520
	ds_read_b64 v[42:43], v91 offset:7392
.LBB0_23:
	s_or_b64 exec, exec, s[2:3]
	s_waitcnt lgkmcnt(2)
	v_mul_f32_e32 v96, v88, v47
	v_fmac_f32_e32 v96, v87, v46
	v_mul_f32_e32 v46, v88, v46
	v_fma_f32 v46, v87, v47, -v46
	v_mul_f32_e32 v97, v88, v61
	v_mul_f32_e32 v47, v88, v60
	v_fmac_f32_e32 v97, v87, v60
	v_fma_f32 v60, v87, v61, -v47
	v_mul_f32_e32 v61, v88, v63
	v_mul_f32_e32 v47, v88, v62
	s_waitcnt lgkmcnt(0)
	v_mul_f32_e32 v102, v88, v43
	v_fmac_f32_e32 v61, v87, v62
	v_fma_f32 v62, v87, v63, -v47
	v_mul_f32_e32 v63, v88, v57
	v_mul_f32_e32 v47, v88, v56
	v_fmac_f32_e32 v102, v87, v42
	v_mul_f32_e32 v42, v88, v42
	v_fmac_f32_e32 v63, v87, v56
	v_fma_f32 v99, v87, v57, -v47
	v_mul_f32_e32 v100, v88, v59
	v_mul_f32_e32 v47, v88, v58
	v_fma_f32 v114, v87, v43, -v42
	v_fmac_f32_e32 v100, v87, v58
	v_fma_f32 v101, v87, v59, -v47
	v_sub_f32_e32 v42, v48, v96
	v_sub_f32_e32 v43, v49, v46
	;; [unrolled: 1-line block ×6, first 2 shown]
	v_fma_f32 v46, v48, 2.0, -v42
	v_fma_f32 v47, v49, 2.0, -v43
	v_sub_f32_e32 v48, v50, v97
	v_sub_f32_e32 v49, v51, v60
	;; [unrolled: 1-line block ×6, first 2 shown]
	v_fma_f32 v60, v40, 2.0, -v62
	v_fma_f32 v61, v41, 2.0, -v63
	;; [unrolled: 1-line block ×10, first 2 shown]
	s_barrier
	ds_write2_b64 v107, v[46:47], v[42:43] offset1:2
	ds_write2_b64 v106, v[50:51], v[48:49] offset1:2
	;; [unrolled: 1-line block ×5, first 2 shown]
	s_and_saveexec_b64 s[2:3], s[0:1]
	s_cbranch_execz .LBB0_25
; %bb.24:
	s_movk_i32 s4, 0x3fc
	v_and_or_b32 v40, v95, s4, v94
	v_lshl_add_u32 v40, v40, 3, v93
	ds_write2_b64 v40, v[60:61], v[62:63] offset1:2
.LBB0_25:
	s_or_b64 exec, exec, s[2:3]
	v_add_u32_e32 v48, 0x1000, v91
	s_waitcnt lgkmcnt(0)
	s_barrier
	v_add_u32_e32 v40, 0x800, v91
	ds_read2_b64 v[56:59], v48 offset0:60 offset1:148
	v_add_u32_e32 v48, 0x400, v91
	v_add_u32_e32 v52, 0x1400, v91
	ds_read2_b64 v[44:47], v91 offset1:88
	ds_read2_b64 v[40:43], v40 offset0:96 offset1:228
	ds_read2_b64 v[48:51], v48 offset0:48 offset1:136
	;; [unrolled: 1-line block ×3, first 2 shown]
	s_and_saveexec_b64 s[2:3], s[0:1]
	s_cbranch_execz .LBB0_27
; %bb.26:
	ds_read_b64 v[60:61], v91 offset:3520
	ds_read_b64 v[62:63], v91 offset:7392
.LBB0_27:
	s_or_b64 exec, exec, s[2:3]
	s_waitcnt lgkmcnt(2)
	v_mul_f32_e32 v87, v90, v43
	v_fmac_f32_e32 v87, v89, v42
	v_mul_f32_e32 v42, v90, v42
	v_fma_f32 v43, v89, v43, -v42
	v_mul_f32_e32 v88, v90, v57
	v_mul_f32_e32 v42, v90, v56
	v_fmac_f32_e32 v88, v89, v56
	v_fma_f32 v56, v89, v57, -v42
	v_mul_f32_e32 v57, v90, v59
	v_mul_f32_e32 v42, v90, v58
	v_fmac_f32_e32 v57, v89, v58
	v_fma_f32 v58, v89, v59, -v42
	s_waitcnt lgkmcnt(0)
	v_mul_f32_e32 v42, v90, v52
	v_mul_f32_e32 v59, v90, v53
	v_fma_f32 v94, v89, v53, -v42
	v_mul_f32_e32 v96, v90, v55
	v_mul_f32_e32 v42, v90, v54
	v_fmac_f32_e32 v59, v89, v52
	v_fmac_f32_e32 v96, v89, v54
	v_fma_f32 v97, v89, v55, -v42
	v_sub_f32_e32 v42, v44, v87
	v_sub_f32_e32 v43, v45, v43
	v_fma_f32 v44, v44, 2.0, -v42
	v_fma_f32 v45, v45, 2.0, -v43
	v_sub_f32_e32 v52, v46, v88
	v_sub_f32_e32 v53, v47, v56
	v_sub_f32_e32 v54, v48, v57
	v_sub_f32_e32 v55, v49, v58
	v_sub_f32_e32 v56, v50, v59
	v_sub_f32_e32 v57, v51, v94
	v_sub_f32_e32 v58, v40, v96
	v_sub_f32_e32 v59, v41, v97
	v_fma_f32 v46, v46, 2.0, -v52
	v_fma_f32 v47, v47, 2.0, -v53
	;; [unrolled: 1-line block ×8, first 2 shown]
	s_barrier
	ds_write2_b64 v108, v[44:45], v[42:43] offset1:4
	ds_write2_b64 v109, v[46:47], v[52:53] offset1:4
	;; [unrolled: 1-line block ×5, first 2 shown]
	s_and_saveexec_b64 s[2:3], s[0:1]
	s_cbranch_execz .LBB0_29
; %bb.28:
	v_mul_f32_e32 v40, v90, v62
	v_fma_f32 v40, v89, v63, -v40
	v_sub_f32_e32 v41, v61, v40
	v_mul_f32_e32 v40, v90, v63
	v_fmac_f32_e32 v40, v89, v62
	s_movk_i32 s4, 0x3f8
	v_sub_f32_e32 v40, v60, v40
	v_and_or_b32 v44, v95, s4, v98
	v_fma_f32 v43, v61, 2.0, -v41
	v_fma_f32 v42, v60, 2.0, -v40
	v_lshl_add_u32 v44, v44, 3, v93
	ds_write2_b64 v44, v[42:43], v[40:41] offset1:4
.LBB0_29:
	s_or_b64 exec, exec, s[2:3]
	s_waitcnt lgkmcnt(0)
	s_barrier
	ds_read2_b64 v[46:49], v91 offset1:88
	v_add_u32_e32 v43, 0x400, v91
	ds_read2_b64 v[50:53], v43 offset0:48 offset1:136
	v_add_u32_e32 v45, 0x800, v91
	ds_read2_b64 v[54:57], v45 offset0:96 offset1:184
	;; [unrolled: 2-line block ×3, first 2 shown]
	s_waitcnt lgkmcnt(3)
	v_mul_f32_e32 v93, v13, v49
	v_mul_f32_e32 v13, v13, v48
	v_fmac_f32_e32 v93, v12, v48
	v_fma_f32 v12, v12, v49, -v13
	s_waitcnt lgkmcnt(2)
	v_mul_f32_e32 v13, v15, v51
	v_mul_f32_e32 v15, v15, v50
	v_add_u32_e32 v42, 0x1400, v91
	v_fmac_f32_e32 v13, v14, v50
	v_fma_f32 v14, v14, v51, -v15
	v_mul_f32_e32 v15, v9, v53
	v_mul_f32_e32 v9, v9, v52
	ds_read2_b64 v[87:90], v42 offset0:64 offset1:152
	ds_read_b64 v[62:63], v91 offset:7040
	v_fmac_f32_e32 v15, v8, v52
	v_fma_f32 v8, v8, v53, -v9
	s_waitcnt lgkmcnt(3)
	v_mul_f32_e32 v9, v11, v55
	v_mul_f32_e32 v11, v11, v54
	v_fmac_f32_e32 v9, v10, v54
	v_fma_f32 v10, v10, v55, -v11
	v_mul_f32_e32 v11, v5, v57
	v_mul_f32_e32 v5, v5, v56
	v_fmac_f32_e32 v11, v4, v56
	v_fma_f32 v4, v4, v57, -v5
	s_waitcnt lgkmcnt(2)
	v_mul_f32_e32 v5, v7, v59
	v_mul_f32_e32 v7, v7, v58
	v_fmac_f32_e32 v5, v6, v58
	v_fma_f32 v6, v6, v59, -v7
	v_mul_f32_e32 v7, v1, v61
	v_mul_f32_e32 v1, v1, v60
	;; [unrolled: 9-line block ×3, first 2 shown]
	v_add_f32_e32 v1, v47, v12
	v_fmac_f32_e32 v3, v16, v89
	v_fma_f32 v16, v16, v90, -v0
	s_waitcnt lgkmcnt(0)
	v_mul_f32_e32 v17, v19, v63
	v_mul_f32_e32 v0, v19, v62
	v_add_f32_e32 v1, v1, v14
	v_fmac_f32_e32 v17, v18, v62
	v_fma_f32 v18, v18, v63, -v0
	v_add_f32_e32 v0, v46, v93
	v_add_f32_e32 v1, v1, v8
	;; [unrolled: 1-line block ×15, first 2 shown]
	v_sub_f32_e32 v12, v12, v18
	v_mad_u64_u32 v[40:41], s[2:3], s10, v78, 0
	v_add_f32_e32 v0, v0, v49
	v_add_f32_e32 v1, v1, v18
	v_mul_f32_e32 v18, 0xbf0a6770, v12
	v_mul_f32_e32 v54, 0xbf68dda4, v12
	;; [unrolled: 1-line block ×5, first 2 shown]
	v_add_f32_e32 v0, v0, v3
	v_add_f32_e32 v19, v93, v17
	s_mov_b32 s4, 0x3f575c64
	v_mov_b32_e32 v51, v18
	v_mul_f32_e32 v52, 0x3f575c64, v50
	s_mov_b32 s2, 0x3ed4b147
	v_mov_b32_e32 v55, v54
	v_mul_f32_e32 v56, 0x3ed4b147, v50
	;; [unrolled: 3-line block ×5, first 2 shown]
	v_add_f32_e32 v0, v0, v17
	v_sub_f32_e32 v17, v93, v17
	v_fmac_f32_e32 v51, 0x3f575c64, v19
	v_mov_b32_e32 v53, v52
	v_fma_f32 v18, v19, s4, -v18
	v_fmac_f32_e32 v55, 0x3ed4b147, v19
	v_mov_b32_e32 v57, v56
	v_fma_f32 v54, v19, s2, -v54
	;; [unrolled: 3-line block ×5, first 2 shown]
	v_add_f32_e32 v51, v46, v51
	v_fmac_f32_e32 v53, 0x3f0a6770, v17
	v_add_f32_e32 v18, v46, v18
	v_fmac_f32_e32 v52, 0xbf0a6770, v17
	;; [unrolled: 2-line block ×10, first 2 shown]
	v_add_f32_e32 v19, v13, v3
	v_add_f32_e32 v46, v14, v16
	v_sub_f32_e32 v3, v13, v3
	v_sub_f32_e32 v13, v14, v16
	v_add_f32_e32 v53, v47, v53
	v_add_f32_e32 v52, v47, v52
	;; [unrolled: 1-line block ×10, first 2 shown]
	v_mul_f32_e32 v14, 0xbf68dda4, v13
	v_mul_f32_e32 v47, 0x3ed4b147, v46
	v_mov_b32_e32 v16, v14
	v_mov_b32_e32 v50, v47
	v_fma_f32 v14, v19, s2, -v14
	v_fmac_f32_e32 v47, 0xbf68dda4, v3
	v_fmac_f32_e32 v16, 0x3ed4b147, v19
	v_add_f32_e32 v14, v14, v18
	v_add_f32_e32 v18, v47, v52
	v_mul_f32_e32 v47, 0xbf4178ce, v13
	v_add_f32_e32 v16, v16, v51
	v_mov_b32_e32 v51, v47
	v_fma_f32 v47, v19, s5, -v47
	v_fmac_f32_e32 v50, 0x3f68dda4, v3
	v_fmac_f32_e32 v51, 0xbf27a4f4, v19
	v_mul_f32_e32 v52, 0xbf27a4f4, v46
	v_add_f32_e32 v47, v47, v54
	v_mul_f32_e32 v54, 0x3e903f40, v13
	v_add_f32_e32 v50, v50, v53
	v_add_f32_e32 v51, v51, v55
	v_mov_b32_e32 v53, v52
	v_fmac_f32_e32 v52, 0xbf4178ce, v3
	v_mov_b32_e32 v55, v54
	v_fma_f32 v54, v19, s10, -v54
	v_fmac_f32_e32 v53, 0x3f4178ce, v3
	v_add_f32_e32 v52, v52, v56
	v_fmac_f32_e32 v55, 0xbf75a155, v19
	v_mul_f32_e32 v56, 0xbf75a155, v46
	v_add_f32_e32 v54, v54, v58
	v_mul_f32_e32 v58, 0x3f7d64f0, v13
	v_add_f32_e32 v53, v53, v57
	v_add_f32_e32 v55, v55, v59
	v_mov_b32_e32 v57, v56
	v_fmac_f32_e32 v56, 0x3e903f40, v3
	v_mov_b32_e32 v59, v58
	v_fmac_f32_e32 v57, 0xbe903f40, v3
	v_add_f32_e32 v56, v56, v60
	v_fmac_f32_e32 v59, 0xbe11bafb, v19
	v_mul_f32_e32 v60, 0xbe11bafb, v46
	v_mul_f32_e32 v46, 0x3f575c64, v46
	v_add_f32_e32 v57, v57, v61
	v_add_f32_e32 v59, v59, v63
	v_mov_b32_e32 v61, v60
	v_mov_b32_e32 v63, v46
	v_fmac_f32_e32 v46, 0x3f0a6770, v3
	v_fmac_f32_e32 v61, 0xbf7d64f0, v3
	v_fma_f32 v58, v19, s3, -v58
	v_fmac_f32_e32 v60, 0x3f7d64f0, v3
	v_mul_f32_e32 v13, 0x3f0a6770, v13
	v_fmac_f32_e32 v63, 0xbf0a6770, v3
	v_add_f32_e32 v3, v46, v17
	v_add_f32_e32 v17, v8, v2
	v_sub_f32_e32 v2, v8, v2
	v_add_f32_e32 v58, v58, v62
	v_mov_b32_e32 v62, v13
	v_fma_f32 v13, v19, s4, -v13
	v_mul_f32_e32 v8, 0xbf7d64f0, v2
	v_fmac_f32_e32 v62, 0x3f575c64, v19
	v_add_f32_e32 v12, v13, v12
	v_add_f32_e32 v13, v15, v49
	v_mov_b32_e32 v19, v8
	v_fmac_f32_e32 v19, 0xbe11bafb, v13
	v_sub_f32_e32 v15, v15, v49
	v_add_f32_e32 v16, v19, v16
	v_mul_f32_e32 v19, 0xbe11bafb, v17
	v_mov_b32_e32 v46, v19
	v_fma_f32 v8, v13, s3, -v8
	v_fmac_f32_e32 v19, 0xbf7d64f0, v15
	v_fmac_f32_e32 v46, 0x3f7d64f0, v15
	v_add_f32_e32 v8, v8, v14
	v_add_f32_e32 v14, v19, v18
	v_mul_f32_e32 v18, 0x3e903f40, v2
	v_mul_f32_e32 v49, 0xbf75a155, v17
	v_add_f32_e32 v46, v46, v50
	v_mov_b32_e32 v19, v18
	v_mov_b32_e32 v50, v49
	v_fma_f32 v18, v13, s10, -v18
	v_fmac_f32_e32 v49, 0x3e903f40, v15
	v_fmac_f32_e32 v19, 0xbf75a155, v13
	v_add_f32_e32 v18, v18, v47
	v_add_f32_e32 v47, v49, v52
	v_mul_f32_e32 v49, 0x3f68dda4, v2
	v_add_f32_e32 v19, v19, v51
	v_mov_b32_e32 v51, v49
	v_fma_f32 v49, v13, s2, -v49
	v_fmac_f32_e32 v51, 0x3ed4b147, v13
	v_add_f32_e32 v49, v49, v54
	v_mul_f32_e32 v54, 0xbf0a6770, v2
	v_fmac_f32_e32 v50, 0xbe903f40, v15
	v_add_f32_e32 v51, v51, v55
	v_mul_f32_e32 v52, 0x3ed4b147, v17
	v_mov_b32_e32 v55, v54
	v_fma_f32 v54, v13, s4, -v54
	v_mul_f32_e32 v2, 0xbf4178ce, v2
	v_add_f32_e32 v50, v50, v53
	v_mov_b32_e32 v53, v52
	v_fmac_f32_e32 v52, 0x3f68dda4, v15
	v_add_f32_e32 v54, v54, v58
	v_mov_b32_e32 v58, v2
	v_fma_f32 v2, v13, s5, -v2
	v_fmac_f32_e32 v53, 0xbf68dda4, v15
	v_add_f32_e32 v52, v52, v56
	v_fmac_f32_e32 v55, 0x3f575c64, v13
	v_mul_f32_e32 v56, 0x3f575c64, v17
	v_mul_f32_e32 v17, 0xbf27a4f4, v17
	v_add_f32_e32 v2, v2, v12
	v_add_f32_e32 v12, v9, v7
	v_sub_f32_e32 v7, v9, v7
	v_sub_f32_e32 v9, v10, v48
	v_add_f32_e32 v53, v53, v57
	v_add_f32_e32 v55, v55, v59
	v_mov_b32_e32 v57, v56
	v_fmac_f32_e32 v58, 0xbf27a4f4, v13
	v_mov_b32_e32 v59, v17
	v_add_f32_e32 v13, v10, v48
	v_mul_f32_e32 v10, 0xbf4178ce, v9
	v_fmac_f32_e32 v57, 0x3f0a6770, v15
	v_fmac_f32_e32 v56, 0xbf0a6770, v15
	;; [unrolled: 1-line block ×4, first 2 shown]
	v_mov_b32_e32 v15, v10
	v_fmac_f32_e32 v15, 0xbf27a4f4, v12
	v_add_f32_e32 v15, v15, v16
	v_mul_f32_e32 v16, 0xbf27a4f4, v13
	v_add_f32_e32 v3, v17, v3
	v_mov_b32_e32 v17, v16
	v_fma_f32 v10, v12, s5, -v10
	v_fmac_f32_e32 v16, 0xbf4178ce, v7
	v_add_f32_e32 v8, v10, v8
	v_add_f32_e32 v10, v16, v14
	v_mul_f32_e32 v14, 0x3f7d64f0, v9
	v_mov_b32_e32 v16, v14
	v_fmac_f32_e32 v16, 0xbe11bafb, v12
	v_fmac_f32_e32 v17, 0x3f4178ce, v7
	v_add_f32_e32 v16, v16, v19
	v_mul_f32_e32 v19, 0xbe11bafb, v13
	v_add_f32_e32 v17, v17, v46
	v_mov_b32_e32 v46, v19
	v_fma_f32 v14, v12, s3, -v14
	v_fmac_f32_e32 v19, 0x3f7d64f0, v7
	v_add_f32_e32 v14, v14, v18
	v_add_f32_e32 v18, v19, v47
	v_mul_f32_e32 v19, 0xbf0a6770, v9
	v_mov_b32_e32 v47, v19
	v_fma_f32 v19, v12, s4, -v19
	v_fmac_f32_e32 v46, 0xbf7d64f0, v7
	v_fmac_f32_e32 v47, 0x3f575c64, v12
	v_mul_f32_e32 v48, 0x3f575c64, v13
	v_add_f32_e32 v19, v19, v49
	v_mul_f32_e32 v49, 0xbe903f40, v9
	v_add_f32_e32 v46, v46, v50
	v_add_f32_e32 v47, v47, v51
	v_mov_b32_e32 v50, v48
	v_fmac_f32_e32 v48, 0xbf0a6770, v7
	v_mov_b32_e32 v51, v49
	v_add_f32_e32 v48, v48, v52
	v_fmac_f32_e32 v51, 0xbf75a155, v12
	v_mul_f32_e32 v52, 0xbf75a155, v13
	v_fma_f32 v49, v12, s10, -v49
	v_mul_f32_e32 v9, 0x3f68dda4, v9
	v_mul_f32_e32 v13, 0x3ed4b147, v13
	v_add_f32_e32 v61, v61, v88
	v_add_f32_e32 v62, v62, v89
	;; [unrolled: 1-line block ×5, first 2 shown]
	v_mov_b32_e32 v54, v9
	v_mov_b32_e32 v55, v13
	v_add_f32_e32 v60, v60, v87
	v_add_f32_e32 v57, v57, v61
	;; [unrolled: 1-line block ×4, first 2 shown]
	v_fmac_f32_e32 v50, 0x3f0a6770, v7
	v_fmac_f32_e32 v54, 0x3ed4b147, v12
	;; [unrolled: 1-line block ×3, first 2 shown]
	v_sub_f32_e32 v61, v4, v6
	v_add_f32_e32 v56, v56, v60
	v_add_f32_e32 v50, v50, v53
	v_mov_b32_e32 v53, v52
	v_fmac_f32_e32 v52, 0xbe903f40, v7
	v_add_f32_e32 v54, v54, v58
	v_add_f32_e32 v55, v55, v59
	v_fma_f32 v9, v12, s2, -v9
	v_add_f32_e32 v58, v11, v5
	v_add_f32_e32 v59, v4, v6
	v_mul_f32_e32 v4, 0xbe903f40, v61
	v_fmac_f32_e32 v53, 0x3e903f40, v7
	v_add_f32_e32 v52, v52, v56
	v_add_f32_e32 v56, v9, v2
	v_fmac_f32_e32 v13, 0x3f68dda4, v7
	v_sub_f32_e32 v60, v11, v5
	v_mov_b32_e32 v2, v4
	v_mul_f32_e32 v5, 0xbf75a155, v59
	v_fma_f32 v4, v58, s10, -v4
	v_add_f32_e32 v53, v53, v57
	v_add_f32_e32 v57, v13, v3
	v_mov_b32_e32 v3, v5
	v_add_f32_e32 v4, v4, v8
	v_fmac_f32_e32 v5, 0xbe903f40, v60
	v_mul_f32_e32 v8, 0x3f0a6770, v61
	v_mul_f32_e32 v9, 0x3f575c64, v59
	;; [unrolled: 1-line block ×3, first 2 shown]
	v_add_f32_e32 v5, v5, v10
	v_mov_b32_e32 v6, v8
	v_mov_b32_e32 v7, v9
	;; [unrolled: 1-line block ×3, first 2 shown]
	v_fmac_f32_e32 v3, 0x3e903f40, v60
	v_fmac_f32_e32 v6, 0x3f575c64, v58
	;; [unrolled: 1-line block ×5, first 2 shown]
	v_add_f32_e32 v3, v3, v17
	v_add_f32_e32 v6, v6, v16
	;; [unrolled: 1-line block ×3, first 2 shown]
	v_fma_f32 v8, v58, s4, -v8
	v_fmac_f32_e32 v9, 0x3f0a6770, v60
	v_add_f32_e32 v10, v10, v47
	v_mul_f32_e32 v13, 0xbf27a4f4, v59
	v_fma_f32 v12, v58, s5, -v12
	v_mul_f32_e32 v16, 0x3f68dda4, v61
	v_mul_f32_e32 v17, 0x3ed4b147, v59
	;; [unrolled: 1-line block ×4, first 2 shown]
	v_add_f32_e32 v2, v2, v15
	v_add_f32_e32 v8, v8, v14
	;; [unrolled: 1-line block ×3, first 2 shown]
	v_mov_b32_e32 v11, v13
	v_add_f32_e32 v12, v12, v19
	v_mov_b32_e32 v14, v16
	v_mov_b32_e32 v15, v17
	;; [unrolled: 1-line block ×4, first 2 shown]
	v_fmac_f32_e32 v11, 0x3f4178ce, v60
	v_fmac_f32_e32 v13, 0xbf4178ce, v60
	v_fmac_f32_e32 v14, 0x3ed4b147, v58
	v_fmac_f32_e32 v15, 0xbf68dda4, v60
	v_fma_f32 v16, v58, s2, -v16
	v_fmac_f32_e32 v17, 0x3f68dda4, v60
	v_fmac_f32_e32 v18, 0xbe11bafb, v58
	v_fmac_f32_e32 v19, 0x3f7d64f0, v60
	v_fma_f32 v46, v58, s3, -v46
	v_fmac_f32_e32 v47, 0xbf7d64f0, v60
	v_add_f32_e32 v11, v11, v50
	v_add_f32_e32 v13, v13, v48
	;; [unrolled: 1-line block ×10, first 2 shown]
	s_barrier
	ds_write2_b64 v113, v[0:1], v[2:3] offset1:8
	ds_write2_b64 v113, v[6:7], v[10:11] offset0:16 offset1:24
	ds_write2_b64 v113, v[14:15], v[18:19] offset0:32 offset1:40
	;; [unrolled: 1-line block ×4, first 2 shown]
	ds_write_b64 v113, v[4:5] offset:640
	s_waitcnt lgkmcnt(0)
	s_barrier
	ds_read2_b64 v[0:3], v91 offset1:88
	ds_read2_b64 v[4:7], v43 offset0:48 offset1:136
	ds_read2_b64 v[8:11], v45 offset0:96 offset1:184
	;; [unrolled: 1-line block ×4, first 2 shown]
	ds_read_b64 v[46:47], v91 offset:7040
	s_waitcnt lgkmcnt(5)
	v_mul_f32_e32 v48, v33, v3
	v_fmac_f32_e32 v48, v32, v2
	v_mul_f32_e32 v2, v33, v2
	v_fma_f32 v32, v32, v3, -v2
	s_waitcnt lgkmcnt(4)
	v_mul_f32_e32 v33, v35, v5
	v_mul_f32_e32 v2, v35, v4
	v_fmac_f32_e32 v33, v34, v4
	v_fma_f32 v4, v34, v5, -v2
	v_mul_f32_e32 v5, v29, v7
	v_mul_f32_e32 v2, v29, v6
	v_fmac_f32_e32 v5, v28, v6
	v_fma_f32 v6, v28, v7, -v2
	s_waitcnt lgkmcnt(3)
	v_mul_f32_e32 v7, v31, v9
	v_mul_f32_e32 v2, v31, v8
	v_fmac_f32_e32 v7, v30, v8
	v_fma_f32 v8, v30, v9, -v2
	v_mul_f32_e32 v9, v25, v11
	v_mul_f32_e32 v2, v25, v10
	v_fmac_f32_e32 v9, v24, v10
	v_fma_f32 v10, v24, v11, -v2
	s_waitcnt lgkmcnt(2)
	v_mul_f32_e32 v11, v27, v13
	v_mul_f32_e32 v2, v27, v12
	v_add_f32_e32 v3, v1, v32
	v_fmac_f32_e32 v11, v26, v12
	v_fma_f32 v12, v26, v13, -v2
	v_mul_f32_e32 v13, v21, v15
	v_mul_f32_e32 v2, v21, v14
	v_add_f32_e32 v3, v3, v4
	v_fmac_f32_e32 v13, v20, v14
	v_fma_f32 v14, v20, v15, -v2
	s_waitcnt lgkmcnt(1)
	v_mul_f32_e32 v15, v23, v17
	v_mul_f32_e32 v2, v23, v16
	v_add_f32_e32 v3, v3, v6
	v_fmac_f32_e32 v15, v22, v16
	v_fma_f32 v16, v22, v17, -v2
	v_mul_f32_e32 v17, v37, v19
	v_mul_f32_e32 v2, v37, v18
	v_add_f32_e32 v3, v3, v8
	v_fmac_f32_e32 v17, v36, v18
	v_fma_f32 v18, v36, v19, -v2
	s_waitcnt lgkmcnt(0)
	v_mul_f32_e32 v2, v39, v46
	v_add_f32_e32 v3, v3, v10
	v_fma_f32 v20, v38, v47, -v2
	v_add_f32_e32 v2, v0, v48
	v_add_f32_e32 v3, v3, v12
	;; [unrolled: 1-line block ×8, first 2 shown]
	v_mul_f32_e32 v19, v39, v47
	v_add_f32_e32 v2, v2, v9
	v_add_f32_e32 v3, v3, v20
	;; [unrolled: 1-line block ×3, first 2 shown]
	v_sub_f32_e32 v20, v32, v20
	v_fmac_f32_e32 v19, v38, v46
	v_add_f32_e32 v2, v2, v11
	v_mul_f32_e32 v23, 0xbf0a6770, v20
	v_mul_f32_e32 v27, 0xbf68dda4, v20
	;; [unrolled: 1-line block ×5, first 2 shown]
	v_add_f32_e32 v2, v2, v13
	v_add_f32_e32 v21, v48, v19
	v_mov_b32_e32 v24, v23
	v_mov_b32_e32 v28, v27
	;; [unrolled: 1-line block ×5, first 2 shown]
	v_add_f32_e32 v2, v2, v15
	v_fmac_f32_e32 v24, 0x3f575c64, v21
	v_fma_f32 v23, v21, s4, -v23
	v_fmac_f32_e32 v28, 0x3ed4b147, v21
	v_fma_f32 v27, v21, s2, -v27
	;; [unrolled: 2-line block ×5, first 2 shown]
	v_add_f32_e32 v2, v2, v17
	v_add_f32_e32 v24, v0, v24
	v_mul_f32_e32 v25, 0x3f575c64, v22
	v_add_f32_e32 v23, v0, v23
	v_add_f32_e32 v28, v0, v28
	v_mul_f32_e32 v29, 0x3ed4b147, v22
	;; [unrolled: 3-line block ×5, first 2 shown]
	v_add_f32_e32 v0, v0, v20
	v_add_f32_e32 v20, v4, v18
	v_sub_f32_e32 v4, v4, v18
	v_add_f32_e32 v2, v2, v19
	v_sub_f32_e32 v19, v48, v19
	v_mov_b32_e32 v26, v25
	v_mov_b32_e32 v30, v29
	;; [unrolled: 1-line block ×5, first 2 shown]
	v_mul_f32_e32 v18, 0xbf68dda4, v4
	v_fmac_f32_e32 v26, 0x3f0a6770, v19
	v_fmac_f32_e32 v25, 0xbf0a6770, v19
	;; [unrolled: 1-line block ×10, first 2 shown]
	v_add_f32_e32 v19, v33, v17
	v_mov_b32_e32 v21, v18
	v_add_f32_e32 v26, v1, v26
	v_add_f32_e32 v25, v1, v25
	;; [unrolled: 1-line block ×10, first 2 shown]
	v_sub_f32_e32 v17, v33, v17
	v_fmac_f32_e32 v21, 0x3ed4b147, v19
	v_mul_f32_e32 v22, 0x3ed4b147, v20
	v_fma_f32 v18, v19, s2, -v18
	v_add_f32_e32 v21, v21, v24
	v_mov_b32_e32 v24, v22
	v_add_f32_e32 v18, v18, v23
	v_fmac_f32_e32 v22, 0xbf68dda4, v17
	v_mul_f32_e32 v23, 0xbf4178ce, v4
	v_fmac_f32_e32 v24, 0x3f68dda4, v17
	v_add_f32_e32 v22, v22, v25
	v_mov_b32_e32 v25, v23
	v_add_f32_e32 v24, v24, v26
	v_fmac_f32_e32 v25, 0xbf27a4f4, v19
	v_mul_f32_e32 v26, 0xbf27a4f4, v20
	v_fma_f32 v23, v19, s5, -v23
	v_add_f32_e32 v25, v25, v28
	v_mov_b32_e32 v28, v26
	v_add_f32_e32 v23, v23, v27
	v_fmac_f32_e32 v26, 0xbf4178ce, v17
	v_mul_f32_e32 v27, 0x3e903f40, v4
	v_fmac_f32_e32 v28, 0x3f4178ce, v17
	v_add_f32_e32 v26, v26, v29
	v_mov_b32_e32 v29, v27
	v_fma_f32 v27, v19, s10, -v27
	v_add_f32_e32 v28, v28, v30
	v_fmac_f32_e32 v29, 0xbf75a155, v19
	v_mul_f32_e32 v30, 0xbf75a155, v20
	v_add_f32_e32 v27, v27, v31
	v_mul_f32_e32 v31, 0x3f7d64f0, v4
	v_add_f32_e32 v29, v29, v32
	v_mov_b32_e32 v32, v30
	v_fmac_f32_e32 v30, 0x3e903f40, v17
	v_mov_b32_e32 v33, v31
	v_fmac_f32_e32 v32, 0xbe903f40, v17
	v_add_f32_e32 v30, v30, v34
	v_fmac_f32_e32 v33, 0xbe11bafb, v19
	v_mul_f32_e32 v34, 0xbe11bafb, v20
	v_mul_f32_e32 v20, 0x3f575c64, v20
	v_add_f32_e32 v32, v32, v35
	v_add_f32_e32 v33, v33, v37
	v_mov_b32_e32 v35, v34
	v_fma_f32 v31, v19, s3, -v31
	v_mul_f32_e32 v4, 0x3f0a6770, v4
	v_mov_b32_e32 v37, v20
	v_fmac_f32_e32 v35, 0xbf7d64f0, v17
	v_add_f32_e32 v31, v31, v36
	v_fmac_f32_e32 v34, 0x3f7d64f0, v17
	v_mov_b32_e32 v36, v4
	v_fmac_f32_e32 v37, 0xbf0a6770, v17
	v_fma_f32 v4, v19, s4, -v4
	v_fmac_f32_e32 v20, 0x3f0a6770, v17
	v_add_f32_e32 v17, v6, v16
	v_sub_f32_e32 v6, v6, v16
	v_fmac_f32_e32 v36, 0x3f575c64, v19
	v_add_f32_e32 v0, v4, v0
	v_add_f32_e32 v4, v5, v15
	v_sub_f32_e32 v5, v5, v15
	v_mul_f32_e32 v15, 0xbf7d64f0, v6
	v_mul_f32_e32 v19, 0xbe11bafb, v17
	v_add_f32_e32 v1, v20, v1
	v_mov_b32_e32 v16, v15
	v_mov_b32_e32 v20, v19
	v_fma_f32 v15, v4, s3, -v15
	v_fmac_f32_e32 v19, 0xbf7d64f0, v5
	v_fmac_f32_e32 v16, 0xbe11bafb, v4
	v_add_f32_e32 v15, v15, v18
	v_add_f32_e32 v18, v19, v22
	v_mul_f32_e32 v19, 0x3e903f40, v6
	v_add_f32_e32 v16, v16, v21
	v_mov_b32_e32 v21, v19
	v_fma_f32 v19, v4, s10, -v19
	v_fmac_f32_e32 v21, 0xbf75a155, v4
	v_add_f32_e32 v19, v19, v23
	v_mul_f32_e32 v23, 0x3f68dda4, v6
	v_fmac_f32_e32 v20, 0x3f7d64f0, v5
	v_add_f32_e32 v21, v21, v25
	v_mul_f32_e32 v22, 0xbf75a155, v17
	v_mov_b32_e32 v25, v23
	v_fma_f32 v23, v4, s2, -v23
	v_add_f32_e32 v20, v20, v24
	v_mov_b32_e32 v24, v22
	v_fmac_f32_e32 v22, 0x3e903f40, v5
	v_fmac_f32_e32 v25, 0x3ed4b147, v4
	v_add_f32_e32 v23, v23, v27
	v_mul_f32_e32 v27, 0xbf0a6770, v6
	v_fmac_f32_e32 v24, 0xbe903f40, v5
	v_add_f32_e32 v22, v22, v26
	v_add_f32_e32 v25, v25, v29
	v_mul_f32_e32 v26, 0x3ed4b147, v17
	v_mov_b32_e32 v29, v27
	v_fma_f32 v27, v4, s4, -v27
	v_mul_f32_e32 v6, 0xbf4178ce, v6
	v_add_f32_e32 v24, v24, v28
	v_mov_b32_e32 v28, v26
	v_fmac_f32_e32 v26, 0x3f68dda4, v5
	v_add_f32_e32 v27, v27, v31
	v_mov_b32_e32 v31, v6
	v_fmac_f32_e32 v28, 0xbf68dda4, v5
	v_add_f32_e32 v26, v26, v30
	v_fmac_f32_e32 v29, 0x3f575c64, v4
	v_mul_f32_e32 v30, 0x3f575c64, v17
	v_fmac_f32_e32 v31, 0xbf27a4f4, v4
	v_mul_f32_e32 v17, 0xbf27a4f4, v17
	v_fma_f32 v4, v4, s5, -v6
	v_add_f32_e32 v28, v28, v32
	v_add_f32_e32 v29, v29, v33
	v_mov_b32_e32 v32, v30
	v_mov_b32_e32 v33, v17
	v_add_f32_e32 v0, v4, v0
	v_add_f32_e32 v4, v7, v13
	v_sub_f32_e32 v6, v7, v13
	v_sub_f32_e32 v7, v8, v14
	v_fmac_f32_e32 v32, 0x3f0a6770, v5
	v_fmac_f32_e32 v30, 0xbf0a6770, v5
	;; [unrolled: 1-line block ×4, first 2 shown]
	v_add_f32_e32 v5, v8, v14
	v_mul_f32_e32 v8, 0xbf4178ce, v7
	v_mov_b32_e32 v13, v8
	v_fmac_f32_e32 v13, 0xbf27a4f4, v4
	v_mul_f32_e32 v14, 0xbf27a4f4, v5
	v_fma_f32 v8, v4, s5, -v8
	v_add_f32_e32 v13, v13, v16
	v_mov_b32_e32 v16, v14
	v_add_f32_e32 v8, v8, v15
	v_fmac_f32_e32 v14, 0xbf4178ce, v6
	v_mul_f32_e32 v15, 0x3f7d64f0, v7
	v_add_f32_e32 v1, v17, v1
	v_fmac_f32_e32 v16, 0x3f4178ce, v6
	v_add_f32_e32 v14, v14, v18
	v_mov_b32_e32 v17, v15
	v_mul_f32_e32 v18, 0xbe11bafb, v5
	v_fma_f32 v15, v4, s3, -v15
	v_add_f32_e32 v16, v16, v20
	v_fmac_f32_e32 v17, 0xbe11bafb, v4
	v_mov_b32_e32 v20, v18
	v_add_f32_e32 v15, v15, v19
	v_fmac_f32_e32 v18, 0x3f7d64f0, v6
	v_mul_f32_e32 v19, 0xbf0a6770, v7
	v_add_f32_e32 v17, v17, v21
	v_fmac_f32_e32 v20, 0xbf7d64f0, v6
	v_add_f32_e32 v18, v18, v22
	v_mov_b32_e32 v21, v19
	v_mul_f32_e32 v22, 0x3f575c64, v5
	v_fma_f32 v19, v4, s4, -v19
	v_add_f32_e32 v20, v20, v24
	v_fmac_f32_e32 v21, 0x3f575c64, v4
	v_mov_b32_e32 v24, v22
	v_add_f32_e32 v19, v19, v23
	v_fmac_f32_e32 v22, 0xbf0a6770, v6
	v_mul_f32_e32 v23, 0xbe903f40, v7
	v_add_f32_e32 v21, v21, v25
	v_fmac_f32_e32 v24, 0x3f0a6770, v6
	v_add_f32_e32 v22, v22, v26
	v_mov_b32_e32 v25, v23
	v_mul_f32_e32 v26, 0xbf75a155, v5
	v_fma_f32 v23, v4, s10, -v23
	v_mul_f32_e32 v7, 0x3f68dda4, v7
	v_add_f32_e32 v35, v35, v39
	v_add_f32_e32 v34, v34, v38
	;; [unrolled: 1-line block ×3, first 2 shown]
	v_fmac_f32_e32 v25, 0xbf75a155, v4
	v_mov_b32_e32 v28, v26
	v_add_f32_e32 v23, v23, v27
	v_mov_b32_e32 v27, v7
	v_mul_f32_e32 v5, 0x3ed4b147, v5
	v_add_f32_e32 v37, v37, v47
	v_add_f32_e32 v32, v32, v35
	;; [unrolled: 1-line block ×4, first 2 shown]
	v_fmac_f32_e32 v28, 0x3e903f40, v6
	v_fmac_f32_e32 v26, 0xbe903f40, v6
	;; [unrolled: 1-line block ×3, first 2 shown]
	v_mov_b32_e32 v29, v5
	v_fma_f32 v4, v4, s2, -v7
	v_sub_f32_e32 v35, v10, v12
	v_add_f32_e32 v36, v36, v46
	v_add_f32_e32 v33, v33, v37
	;; [unrolled: 1-line block ×4, first 2 shown]
	v_fmac_f32_e32 v29, 0xbf68dda4, v6
	v_add_f32_e32 v30, v4, v0
	v_add_f32_e32 v32, v9, v11
	v_mul_f32_e32 v4, 0xbe903f40, v35
	v_add_f32_e32 v31, v31, v36
	v_add_f32_e32 v29, v29, v33
	v_fmac_f32_e32 v5, 0x3f68dda4, v6
	v_add_f32_e32 v33, v10, v12
	v_mov_b32_e32 v0, v4
	v_fma_f32 v4, v32, s10, -v4
	v_add_f32_e32 v27, v27, v31
	v_add_f32_e32 v31, v5, v1
	v_sub_f32_e32 v34, v9, v11
	v_mul_f32_e32 v5, 0xbf75a155, v33
	v_add_f32_e32 v4, v4, v8
	v_mul_f32_e32 v8, 0x3f0a6770, v35
	v_mul_f32_e32 v9, 0x3f575c64, v33
	;; [unrolled: 1-line block ×3, first 2 shown]
	v_mov_b32_e32 v1, v5
	v_mov_b32_e32 v6, v8
	;; [unrolled: 1-line block ×4, first 2 shown]
	v_fmac_f32_e32 v0, 0xbf75a155, v32
	v_fmac_f32_e32 v1, 0x3e903f40, v34
	;; [unrolled: 1-line block ×5, first 2 shown]
	v_add_f32_e32 v0, v0, v13
	v_add_f32_e32 v1, v1, v16
	v_fmac_f32_e32 v5, 0xbe903f40, v34
	v_add_f32_e32 v6, v6, v17
	v_add_f32_e32 v7, v7, v20
	v_fma_f32 v8, v32, s4, -v8
	v_fmac_f32_e32 v9, 0x3f0a6770, v34
	v_add_f32_e32 v10, v10, v21
	v_mul_f32_e32 v13, 0xbf27a4f4, v33
	v_fma_f32 v12, v32, s5, -v12
	v_mul_f32_e32 v16, 0x3f68dda4, v35
	v_mul_f32_e32 v17, 0x3ed4b147, v33
	;; [unrolled: 1-line block ×4, first 2 shown]
	v_add_f32_e32 v5, v5, v14
	v_add_f32_e32 v8, v8, v15
	;; [unrolled: 1-line block ×3, first 2 shown]
	v_mov_b32_e32 v11, v13
	v_add_f32_e32 v12, v12, v19
	v_mov_b32_e32 v14, v16
	v_mov_b32_e32 v15, v17
	;; [unrolled: 1-line block ×4, first 2 shown]
	v_fmac_f32_e32 v11, 0x3f4178ce, v34
	v_fmac_f32_e32 v13, 0xbf4178ce, v34
	;; [unrolled: 1-line block ×4, first 2 shown]
	v_fma_f32 v16, v32, s2, -v16
	v_fmac_f32_e32 v17, 0x3f68dda4, v34
	v_fmac_f32_e32 v18, 0xbe11bafb, v32
	;; [unrolled: 1-line block ×3, first 2 shown]
	v_fma_f32 v20, v32, s3, -v20
	v_fmac_f32_e32 v21, 0xbf7d64f0, v34
	v_add_f32_e32 v11, v11, v24
	v_add_f32_e32 v13, v13, v22
	;; [unrolled: 1-line block ×10, first 2 shown]
	ds_write2_b64 v91, v[2:3], v[0:1] offset1:88
	ds_write2_b64 v43, v[6:7], v[10:11] offset0:48 offset1:136
	ds_write2_b64 v45, v[14:15], v[18:19] offset0:96 offset1:184
	;; [unrolled: 1-line block ×4, first 2 shown]
	ds_write_b64 v91, v[4:5] offset:7040
	s_waitcnt lgkmcnt(0)
	s_barrier
	ds_read2_b64 v[0:3], v91 offset1:88
	v_mov_b32_e32 v4, v41
	v_mad_u64_u32 v[4:5], s[2:3], s11, v78, v[4:5]
	s_mov_b32 s2, 0x6be69c90
	s_waitcnt lgkmcnt(0)
	v_mul_f32_e32 v5, v86, v1
	v_fmac_f32_e32 v5, v85, v0
	v_cvt_f64_f32_e32 v[5:6], v5
	s_mov_b32 s3, 0x3f50ecf5
	v_mad_u64_u32 v[8:9], s[4:5], s8, v92, 0
	v_mul_f64 v[5:6], v[5:6], s[2:3]
	v_mul_f32_e32 v0, v86, v0
	v_fma_f32 v0, v85, v1, -v0
	v_cvt_f64_f32_e32 v[0:1], v0
	v_mov_b32_e32 v41, v4
	v_mov_b32_e32 v4, v9
	;; [unrolled: 1-line block ×3, first 2 shown]
	v_mul_f64 v[0:1], v[0:1], s[2:3]
	v_mad_u64_u32 v[9:10], s[4:5], s9, v92, v[4:5]
	v_cvt_f32_f64_e32 v10, v[5:6]
	ds_read2_b64 v[4:7], v45 offset0:96 offset1:228
	v_lshlrev_b64 v[8:9], 3, v[8:9]
	s_mul_i32 s4, s9, 0x1e4
	s_mul_hi_u32 s5, s8, 0x1e4
	v_cvt_f32_f64_e32 v11, v[0:1]
	s_waitcnt lgkmcnt(0)
	v_mul_f32_e32 v12, v84, v7
	v_fmac_f32_e32 v12, v83, v6
	v_mul_f32_e32 v6, v84, v6
	v_fma_f32 v6, v83, v7, -v6
	v_cvt_f64_f32_e32 v[12:13], v12
	v_cvt_f64_f32_e32 v[6:7], v6
	v_lshlrev_b64 v[0:1], 3, v[40:41]
	s_add_i32 s5, s5, s4
	v_add_co_u32_e32 v15, vcc, s6, v0
	v_addc_co_u32_e32 v14, vcc, v14, v1, vcc
	v_mul_f64 v[0:1], v[12:13], s[2:3]
	v_mul_f64 v[6:7], v[6:7], s[2:3]
	v_add_co_u32_e32 v8, vcc, v15, v8
	s_mul_i32 s4, s8, 0x1e4
	v_addc_co_u32_e32 v9, vcc, v14, v9, vcc
	s_lshl_b64 s[4:5], s[4:5], 3
	v_cvt_f32_f64_e32 v0, v[0:1]
	v_cvt_f32_f64_e32 v1, v[6:7]
	v_mul_f32_e32 v6, v82, v3
	v_fmac_f32_e32 v6, v81, v2
	v_mul_f32_e32 v2, v82, v2
	v_fma_f32 v2, v81, v3, -v2
	v_cvt_f64_f32_e32 v[2:3], v2
	v_cvt_f64_f32_e32 v[6:7], v6
	global_store_dwordx2 v[8:9], v[10:11], off
	v_mov_b32_e32 v16, s5
	v_mul_f64 v[2:3], v[2:3], s[2:3]
	v_mul_f64 v[6:7], v[6:7], s[2:3]
	v_add_co_u32_e32 v10, vcc, s4, v8
	v_addc_co_u32_e32 v11, vcc, v9, v16, vcc
	global_store_dwordx2 v[10:11], v[0:1], off
	s_mul_hi_u32 s7, s8, 0xfffffe74
	v_cvt_f32_f64_e32 v13, v[2:3]
	ds_read2_b64 v[0:3], v44 offset0:60 offset1:148
	v_cvt_f32_f64_e32 v12, v[6:7]
	s_mul_i32 s6, s9, 0xfffffe74
	s_sub_i32 s7, s7, s8
	s_add_i32 s7, s7, s6
	s_waitcnt lgkmcnt(0)
	v_mul_f32_e32 v6, v80, v1
	v_fmac_f32_e32 v6, v79, v0
	v_mul_f32_e32 v0, v80, v0
	v_fma_f32 v0, v79, v1, -v0
	v_cvt_f64_f32_e32 v[0:1], v0
	v_cvt_f64_f32_e32 v[6:7], v6
	s_mul_i32 s6, s8, 0xfffffe74
	s_lshl_b64 s[6:7], s[6:7], 3
	v_mul_f64 v[0:1], v[0:1], s[2:3]
	v_mul_f64 v[14:15], v[6:7], s[2:3]
	ds_read2_b64 v[6:9], v43 offset0:48 offset1:136
	v_mov_b32_e32 v17, s7
	v_add_co_u32_e32 v10, vcc, s6, v10
	v_addc_co_u32_e32 v11, vcc, v11, v17, vcc
	global_store_dwordx2 v[10:11], v[12:13], off
	v_cvt_f32_f64_e32 v13, v[0:1]
	s_waitcnt lgkmcnt(0)
	v_mul_f32_e32 v0, v77, v7
	v_fmac_f32_e32 v0, v76, v6
	v_mul_f32_e32 v6, v77, v6
	v_fma_f32 v6, v76, v7, -v6
	v_cvt_f64_f32_e32 v[0:1], v0
	v_cvt_f64_f32_e32 v[6:7], v6
	v_cvt_f32_f64_e32 v12, v[14:15]
	v_mul_f32_e32 v14, v75, v3
	v_mul_f64 v[0:1], v[0:1], s[2:3]
	v_mul_f64 v[6:7], v[6:7], s[2:3]
	v_fmac_f32_e32 v14, v74, v2
	v_cvt_f64_f32_e32 v[14:15], v14
	v_mul_f32_e32 v2, v75, v2
	v_fma_f32 v2, v74, v3, -v2
	v_add_co_u32_e32 v10, vcc, s4, v10
	v_cvt_f64_f32_e32 v[2:3], v2
	v_addc_co_u32_e32 v11, vcc, v11, v16, vcc
	global_store_dwordx2 v[10:11], v[12:13], off
	v_mul_f64 v[12:13], v[14:15], s[2:3]
	v_cvt_f32_f64_e32 v0, v[0:1]
	v_mul_f64 v[2:3], v[2:3], s[2:3]
	v_cvt_f32_f64_e32 v1, v[6:7]
	v_add_co_u32_e32 v6, vcc, s6, v10
	v_addc_co_u32_e32 v7, vcc, v11, v17, vcc
	global_store_dwordx2 v[6:7], v[0:1], off
	v_mul_f32_e32 v0, v73, v9
	v_fmac_f32_e32 v0, v72, v8
	v_cvt_f32_f64_e32 v10, v[12:13]
	v_cvt_f64_f32_e32 v[12:13], v0
	v_mul_f32_e32 v0, v73, v8
	v_fma_f32 v0, v72, v9, -v0
	v_cvt_f32_f64_e32 v11, v[2:3]
	v_cvt_f64_f32_e32 v[8:9], v0
	ds_read2_b64 v[0:3], v42 offset0:108 offset1:196
	v_mul_f64 v[12:13], v[12:13], s[2:3]
	v_add_co_u32_e32 v6, vcc, s4, v6
	v_mul_f64 v[8:9], v[8:9], s[2:3]
	s_waitcnt lgkmcnt(0)
	v_mul_f32_e32 v14, v71, v1
	v_fmac_f32_e32 v14, v70, v0
	v_mul_f32_e32 v0, v71, v0
	v_fma_f32 v0, v70, v1, -v0
	v_cvt_f64_f32_e32 v[0:1], v0
	v_cvt_f64_f32_e32 v[14:15], v14
	v_addc_co_u32_e32 v7, vcc, v7, v16, vcc
	v_mul_f64 v[0:1], v[0:1], s[2:3]
	global_store_dwordx2 v[6:7], v[10:11], off
	v_cvt_f32_f64_e32 v10, v[12:13]
	v_mul_f64 v[12:13], v[14:15], s[2:3]
	v_cvt_f32_f64_e32 v11, v[8:9]
	v_add_co_u32_e32 v6, vcc, s6, v6
	v_addc_co_u32_e32 v7, vcc, v7, v17, vcc
	v_cvt_f32_f64_e32 v9, v[0:1]
	v_mul_f32_e32 v0, v69, v5
	v_fmac_f32_e32 v0, v68, v4
	v_mul_f32_e32 v4, v69, v4
	global_store_dwordx2 v[6:7], v[10:11], off
	v_fma_f32 v4, v68, v5, -v4
	v_mul_f32_e32 v10, v67, v3
	v_cvt_f64_f32_e32 v[0:1], v0
	v_cvt_f64_f32_e32 v[4:5], v4
	v_fmac_f32_e32 v10, v66, v2
	v_mul_f32_e32 v2, v67, v2
	v_fma_f32 v2, v66, v3, -v2
	v_cvt_f32_f64_e32 v8, v[12:13]
	v_cvt_f64_f32_e32 v[10:11], v10
	v_cvt_f64_f32_e32 v[2:3], v2
	v_add_co_u32_e32 v6, vcc, s4, v6
	v_mul_f64 v[0:1], v[0:1], s[2:3]
	v_mul_f64 v[4:5], v[4:5], s[2:3]
	v_addc_co_u32_e32 v7, vcc, v7, v16, vcc
	global_store_dwordx2 v[6:7], v[8:9], off
	v_mul_f64 v[8:9], v[10:11], s[2:3]
	v_mul_f64 v[2:3], v[2:3], s[2:3]
	s_movk_i32 s10, 0x1000
	v_cvt_f32_f64_e32 v0, v[0:1]
	v_cvt_f32_f64_e32 v1, v[4:5]
	v_add_co_u32_e32 v4, vcc, s6, v6
	v_addc_co_u32_e32 v5, vcc, v7, v17, vcc
	v_cvt_f32_f64_e32 v6, v[8:9]
	v_cvt_f32_f64_e32 v7, v[2:3]
	global_store_dwordx2 v[4:5], v[0:1], off
	v_add_co_u32_e32 v0, vcc, s4, v4
	v_addc_co_u32_e32 v1, vcc, v5, v16, vcc
	global_store_dwordx2 v[0:1], v[6:7], off
	s_and_b64 exec, exec, s[0:1]
	s_cbranch_execz .LBB0_31
; %bb.30:
	global_load_dwordx2 v[2:3], v[64:65], off offset:3520
	v_add_co_u32_e32 v4, vcc, s10, v64
	v_addc_co_u32_e32 v5, vcc, 0, v65, vcc
	global_load_dwordx2 v[4:5], v[4:5], off offset:3296
	ds_read_b64 v[6:7], v91 offset:3520
	ds_read_b64 v[8:9], v91 offset:7392
	v_add_co_u32_e32 v0, vcc, s6, v0
	s_waitcnt vmcnt(1) lgkmcnt(1)
	v_mul_f32_e32 v10, v7, v3
	v_mul_f32_e32 v3, v6, v3
	v_fmac_f32_e32 v10, v6, v2
	v_fma_f32 v6, v2, v7, -v3
	v_cvt_f64_f32_e32 v[2:3], v10
	s_waitcnt vmcnt(0) lgkmcnt(0)
	v_mul_f32_e32 v7, v9, v5
	v_mul_f32_e32 v11, v8, v5
	v_cvt_f64_f32_e32 v[5:6], v6
	v_fmac_f32_e32 v7, v8, v4
	v_fma_f32 v8, v4, v9, -v11
	v_cvt_f64_f32_e32 v[8:9], v8
	v_mul_f64 v[4:5], v[5:6], s[2:3]
	v_cvt_f64_f32_e32 v[6:7], v7
	v_mul_f64 v[2:3], v[2:3], s[2:3]
	v_mul_f64 v[8:9], v[8:9], s[2:3]
	v_mov_b32_e32 v10, s7
	v_mul_f64 v[6:7], v[6:7], s[2:3]
	v_addc_co_u32_e32 v1, vcc, v1, v10, vcc
	v_mov_b32_e32 v11, s5
	v_cvt_f32_f64_e32 v2, v[2:3]
	v_cvt_f32_f64_e32 v3, v[4:5]
	;; [unrolled: 1-line block ×4, first 2 shown]
	global_store_dwordx2 v[0:1], v[2:3], off
	v_add_co_u32_e32 v0, vcc, s4, v0
	v_addc_co_u32_e32 v1, vcc, v1, v11, vcc
	global_store_dwordx2 v[0:1], v[4:5], off
.LBB0_31:
	s_endpgm
	.section	.rodata,"a",@progbits
	.p2align	6, 0x0
	.amdhsa_kernel bluestein_single_fwd_len968_dim1_sp_op_CI_CI
		.amdhsa_group_segment_fixed_size 15488
		.amdhsa_private_segment_fixed_size 0
		.amdhsa_kernarg_size 104
		.amdhsa_user_sgpr_count 6
		.amdhsa_user_sgpr_private_segment_buffer 1
		.amdhsa_user_sgpr_dispatch_ptr 0
		.amdhsa_user_sgpr_queue_ptr 0
		.amdhsa_user_sgpr_kernarg_segment_ptr 1
		.amdhsa_user_sgpr_dispatch_id 0
		.amdhsa_user_sgpr_flat_scratch_init 0
		.amdhsa_user_sgpr_private_segment_size 0
		.amdhsa_uses_dynamic_stack 0
		.amdhsa_system_sgpr_private_segment_wavefront_offset 0
		.amdhsa_system_sgpr_workgroup_id_x 1
		.amdhsa_system_sgpr_workgroup_id_y 0
		.amdhsa_system_sgpr_workgroup_id_z 0
		.amdhsa_system_sgpr_workgroup_info 0
		.amdhsa_system_vgpr_workitem_id 0
		.amdhsa_next_free_vgpr 146
		.amdhsa_next_free_sgpr 20
		.amdhsa_reserve_vcc 1
		.amdhsa_reserve_flat_scratch 0
		.amdhsa_float_round_mode_32 0
		.amdhsa_float_round_mode_16_64 0
		.amdhsa_float_denorm_mode_32 3
		.amdhsa_float_denorm_mode_16_64 3
		.amdhsa_dx10_clamp 1
		.amdhsa_ieee_mode 1
		.amdhsa_fp16_overflow 0
		.amdhsa_exception_fp_ieee_invalid_op 0
		.amdhsa_exception_fp_denorm_src 0
		.amdhsa_exception_fp_ieee_div_zero 0
		.amdhsa_exception_fp_ieee_overflow 0
		.amdhsa_exception_fp_ieee_underflow 0
		.amdhsa_exception_fp_ieee_inexact 0
		.amdhsa_exception_int_div_zero 0
	.end_amdhsa_kernel
	.text
.Lfunc_end0:
	.size	bluestein_single_fwd_len968_dim1_sp_op_CI_CI, .Lfunc_end0-bluestein_single_fwd_len968_dim1_sp_op_CI_CI
                                        ; -- End function
	.section	.AMDGPU.csdata,"",@progbits
; Kernel info:
; codeLenInByte = 14660
; NumSgprs: 24
; NumVgprs: 146
; ScratchSize: 0
; MemoryBound: 0
; FloatMode: 240
; IeeeMode: 1
; LDSByteSize: 15488 bytes/workgroup (compile time only)
; SGPRBlocks: 2
; VGPRBlocks: 36
; NumSGPRsForWavesPerEU: 24
; NumVGPRsForWavesPerEU: 146
; Occupancy: 1
; WaveLimiterHint : 1
; COMPUTE_PGM_RSRC2:SCRATCH_EN: 0
; COMPUTE_PGM_RSRC2:USER_SGPR: 6
; COMPUTE_PGM_RSRC2:TRAP_HANDLER: 0
; COMPUTE_PGM_RSRC2:TGID_X_EN: 1
; COMPUTE_PGM_RSRC2:TGID_Y_EN: 0
; COMPUTE_PGM_RSRC2:TGID_Z_EN: 0
; COMPUTE_PGM_RSRC2:TIDIG_COMP_CNT: 0
	.type	__hip_cuid_18fd85f6921dffb8,@object ; @__hip_cuid_18fd85f6921dffb8
	.section	.bss,"aw",@nobits
	.globl	__hip_cuid_18fd85f6921dffb8
__hip_cuid_18fd85f6921dffb8:
	.byte	0                               ; 0x0
	.size	__hip_cuid_18fd85f6921dffb8, 1

	.ident	"AMD clang version 19.0.0git (https://github.com/RadeonOpenCompute/llvm-project roc-6.4.0 25133 c7fe45cf4b819c5991fe208aaa96edf142730f1d)"
	.section	".note.GNU-stack","",@progbits
	.addrsig
	.addrsig_sym __hip_cuid_18fd85f6921dffb8
	.amdgpu_metadata
---
amdhsa.kernels:
  - .args:
      - .actual_access:  read_only
        .address_space:  global
        .offset:         0
        .size:           8
        .value_kind:     global_buffer
      - .actual_access:  read_only
        .address_space:  global
        .offset:         8
        .size:           8
        .value_kind:     global_buffer
      - .actual_access:  read_only
        .address_space:  global
        .offset:         16
        .size:           8
        .value_kind:     global_buffer
      - .actual_access:  read_only
        .address_space:  global
        .offset:         24
        .size:           8
        .value_kind:     global_buffer
      - .actual_access:  read_only
        .address_space:  global
        .offset:         32
        .size:           8
        .value_kind:     global_buffer
      - .offset:         40
        .size:           8
        .value_kind:     by_value
      - .address_space:  global
        .offset:         48
        .size:           8
        .value_kind:     global_buffer
      - .address_space:  global
        .offset:         56
        .size:           8
        .value_kind:     global_buffer
      - .address_space:  global
        .offset:         64
        .size:           8
        .value_kind:     global_buffer
      - .address_space:  global
        .offset:         72
        .size:           8
        .value_kind:     global_buffer
      - .offset:         80
        .size:           4
        .value_kind:     by_value
      - .address_space:  global
        .offset:         88
        .size:           8
        .value_kind:     global_buffer
      - .address_space:  global
        .offset:         96
        .size:           8
        .value_kind:     global_buffer
    .group_segment_fixed_size: 15488
    .kernarg_segment_align: 8
    .kernarg_segment_size: 104
    .language:       OpenCL C
    .language_version:
      - 2
      - 0
    .max_flat_workgroup_size: 176
    .name:           bluestein_single_fwd_len968_dim1_sp_op_CI_CI
    .private_segment_fixed_size: 0
    .sgpr_count:     24
    .sgpr_spill_count: 0
    .symbol:         bluestein_single_fwd_len968_dim1_sp_op_CI_CI.kd
    .uniform_work_group_size: 1
    .uses_dynamic_stack: false
    .vgpr_count:     146
    .vgpr_spill_count: 0
    .wavefront_size: 64
amdhsa.target:   amdgcn-amd-amdhsa--gfx906
amdhsa.version:
  - 1
  - 2
...

	.end_amdgpu_metadata
